;; amdgpu-corpus repo=ROCm/rocFFT kind=compiled arch=gfx906 opt=O3
	.text
	.amdgcn_target "amdgcn-amd-amdhsa--gfx906"
	.amdhsa_code_object_version 6
	.protected	fft_rtc_back_len2000_factors_5_5_5_16_wgs_125_tpt_125_halfLds_sp_ip_CI_unitstride_sbrr_C2R_dirReg ; -- Begin function fft_rtc_back_len2000_factors_5_5_5_16_wgs_125_tpt_125_halfLds_sp_ip_CI_unitstride_sbrr_C2R_dirReg
	.globl	fft_rtc_back_len2000_factors_5_5_5_16_wgs_125_tpt_125_halfLds_sp_ip_CI_unitstride_sbrr_C2R_dirReg
	.p2align	8
	.type	fft_rtc_back_len2000_factors_5_5_5_16_wgs_125_tpt_125_halfLds_sp_ip_CI_unitstride_sbrr_C2R_dirReg,@function
fft_rtc_back_len2000_factors_5_5_5_16_wgs_125_tpt_125_halfLds_sp_ip_CI_unitstride_sbrr_C2R_dirReg: ; @fft_rtc_back_len2000_factors_5_5_5_16_wgs_125_tpt_125_halfLds_sp_ip_CI_unitstride_sbrr_C2R_dirReg
; %bb.0:
	s_load_dwordx2 s[2:3], s[4:5], 0x50
	s_load_dwordx4 s[8:11], s[4:5], 0x0
	s_load_dwordx2 s[12:13], s[4:5], 0x18
	v_mul_u32_u24_e32 v1, 0x20d, v0
	v_add_u32_sdwa v5, s6, v1 dst_sel:DWORD dst_unused:UNUSED_PAD src0_sel:DWORD src1_sel:WORD_1
	v_mov_b32_e32 v3, 0
	s_waitcnt lgkmcnt(0)
	v_cmp_lt_u64_e64 s[0:1], s[10:11], 2
	v_mov_b32_e32 v1, 0
	v_mov_b32_e32 v6, v3
	s_and_b64 vcc, exec, s[0:1]
	v_mov_b32_e32 v2, 0
	s_cbranch_vccnz .LBB0_8
; %bb.1:
	s_load_dwordx2 s[0:1], s[4:5], 0x10
	s_add_u32 s6, s12, 8
	s_addc_u32 s7, s13, 0
	v_mov_b32_e32 v1, 0
	v_mov_b32_e32 v2, 0
	s_waitcnt lgkmcnt(0)
	s_add_u32 s14, s0, 8
	s_addc_u32 s15, s1, 0
	s_mov_b64 s[16:17], 1
.LBB0_2:                                ; =>This Inner Loop Header: Depth=1
	s_load_dwordx2 s[18:19], s[14:15], 0x0
                                        ; implicit-def: $vgpr7_vgpr8
	s_waitcnt lgkmcnt(0)
	v_or_b32_e32 v4, s19, v6
	v_cmp_ne_u64_e32 vcc, 0, v[3:4]
	s_and_saveexec_b64 s[0:1], vcc
	s_xor_b64 s[20:21], exec, s[0:1]
	s_cbranch_execz .LBB0_4
; %bb.3:                                ;   in Loop: Header=BB0_2 Depth=1
	v_cvt_f32_u32_e32 v4, s18
	v_cvt_f32_u32_e32 v7, s19
	s_sub_u32 s0, 0, s18
	s_subb_u32 s1, 0, s19
	v_mac_f32_e32 v4, 0x4f800000, v7
	v_rcp_f32_e32 v4, v4
	v_mul_f32_e32 v4, 0x5f7ffffc, v4
	v_mul_f32_e32 v7, 0x2f800000, v4
	v_trunc_f32_e32 v7, v7
	v_mac_f32_e32 v4, 0xcf800000, v7
	v_cvt_u32_f32_e32 v7, v7
	v_cvt_u32_f32_e32 v4, v4
	v_mul_lo_u32 v8, s0, v7
	v_mul_hi_u32 v9, s0, v4
	v_mul_lo_u32 v11, s1, v4
	v_mul_lo_u32 v10, s0, v4
	v_add_u32_e32 v8, v9, v8
	v_add_u32_e32 v8, v8, v11
	v_mul_hi_u32 v9, v4, v10
	v_mul_lo_u32 v11, v4, v8
	v_mul_hi_u32 v13, v4, v8
	v_mul_hi_u32 v12, v7, v10
	v_mul_lo_u32 v10, v7, v10
	v_mul_hi_u32 v14, v7, v8
	v_add_co_u32_e32 v9, vcc, v9, v11
	v_addc_co_u32_e32 v11, vcc, 0, v13, vcc
	v_mul_lo_u32 v8, v7, v8
	v_add_co_u32_e32 v9, vcc, v9, v10
	v_addc_co_u32_e32 v9, vcc, v11, v12, vcc
	v_addc_co_u32_e32 v10, vcc, 0, v14, vcc
	v_add_co_u32_e32 v8, vcc, v9, v8
	v_addc_co_u32_e32 v9, vcc, 0, v10, vcc
	v_add_co_u32_e32 v4, vcc, v4, v8
	v_addc_co_u32_e32 v7, vcc, v7, v9, vcc
	v_mul_lo_u32 v8, s0, v7
	v_mul_hi_u32 v9, s0, v4
	v_mul_lo_u32 v10, s1, v4
	v_mul_lo_u32 v11, s0, v4
	v_add_u32_e32 v8, v9, v8
	v_add_u32_e32 v8, v8, v10
	v_mul_lo_u32 v12, v4, v8
	v_mul_hi_u32 v13, v4, v11
	v_mul_hi_u32 v14, v4, v8
	;; [unrolled: 1-line block ×3, first 2 shown]
	v_mul_lo_u32 v11, v7, v11
	v_mul_hi_u32 v9, v7, v8
	v_add_co_u32_e32 v12, vcc, v13, v12
	v_addc_co_u32_e32 v13, vcc, 0, v14, vcc
	v_mul_lo_u32 v8, v7, v8
	v_add_co_u32_e32 v11, vcc, v12, v11
	v_addc_co_u32_e32 v10, vcc, v13, v10, vcc
	v_addc_co_u32_e32 v9, vcc, 0, v9, vcc
	v_add_co_u32_e32 v8, vcc, v10, v8
	v_addc_co_u32_e32 v9, vcc, 0, v9, vcc
	v_add_co_u32_e32 v4, vcc, v4, v8
	v_addc_co_u32_e32 v9, vcc, v7, v9, vcc
	v_mad_u64_u32 v[7:8], s[0:1], v5, v9, 0
	v_mul_hi_u32 v10, v5, v4
	v_add_co_u32_e32 v11, vcc, v10, v7
	v_addc_co_u32_e32 v12, vcc, 0, v8, vcc
	v_mad_u64_u32 v[7:8], s[0:1], v6, v4, 0
	v_mad_u64_u32 v[9:10], s[0:1], v6, v9, 0
	v_add_co_u32_e32 v4, vcc, v11, v7
	v_addc_co_u32_e32 v4, vcc, v12, v8, vcc
	v_addc_co_u32_e32 v7, vcc, 0, v10, vcc
	v_add_co_u32_e32 v4, vcc, v4, v9
	v_addc_co_u32_e32 v9, vcc, 0, v7, vcc
	v_mul_lo_u32 v10, s19, v4
	v_mul_lo_u32 v11, s18, v9
	v_mad_u64_u32 v[7:8], s[0:1], s18, v4, 0
	v_add3_u32 v8, v8, v11, v10
	v_sub_u32_e32 v10, v6, v8
	v_mov_b32_e32 v11, s19
	v_sub_co_u32_e32 v7, vcc, v5, v7
	v_subb_co_u32_e64 v10, s[0:1], v10, v11, vcc
	v_subrev_co_u32_e64 v11, s[0:1], s18, v7
	v_subbrev_co_u32_e64 v10, s[0:1], 0, v10, s[0:1]
	v_cmp_le_u32_e64 s[0:1], s19, v10
	v_cndmask_b32_e64 v12, 0, -1, s[0:1]
	v_cmp_le_u32_e64 s[0:1], s18, v11
	v_cndmask_b32_e64 v11, 0, -1, s[0:1]
	v_cmp_eq_u32_e64 s[0:1], s19, v10
	v_cndmask_b32_e64 v10, v12, v11, s[0:1]
	v_add_co_u32_e64 v11, s[0:1], 2, v4
	v_addc_co_u32_e64 v12, s[0:1], 0, v9, s[0:1]
	v_add_co_u32_e64 v13, s[0:1], 1, v4
	v_addc_co_u32_e64 v14, s[0:1], 0, v9, s[0:1]
	v_subb_co_u32_e32 v8, vcc, v6, v8, vcc
	v_cmp_ne_u32_e64 s[0:1], 0, v10
	v_cmp_le_u32_e32 vcc, s19, v8
	v_cndmask_b32_e64 v10, v14, v12, s[0:1]
	v_cndmask_b32_e64 v12, 0, -1, vcc
	v_cmp_le_u32_e32 vcc, s18, v7
	v_cndmask_b32_e64 v7, 0, -1, vcc
	v_cmp_eq_u32_e32 vcc, s19, v8
	v_cndmask_b32_e32 v7, v12, v7, vcc
	v_cmp_ne_u32_e32 vcc, 0, v7
	v_cndmask_b32_e64 v7, v13, v11, s[0:1]
	v_cndmask_b32_e32 v8, v9, v10, vcc
	v_cndmask_b32_e32 v7, v4, v7, vcc
.LBB0_4:                                ;   in Loop: Header=BB0_2 Depth=1
	s_andn2_saveexec_b64 s[0:1], s[20:21]
	s_cbranch_execz .LBB0_6
; %bb.5:                                ;   in Loop: Header=BB0_2 Depth=1
	v_cvt_f32_u32_e32 v4, s18
	s_sub_i32 s20, 0, s18
	v_rcp_iflag_f32_e32 v4, v4
	v_mul_f32_e32 v4, 0x4f7ffffe, v4
	v_cvt_u32_f32_e32 v4, v4
	v_mul_lo_u32 v7, s20, v4
	v_mul_hi_u32 v7, v4, v7
	v_add_u32_e32 v4, v4, v7
	v_mul_hi_u32 v4, v5, v4
	v_mul_lo_u32 v7, v4, s18
	v_add_u32_e32 v8, 1, v4
	v_sub_u32_e32 v7, v5, v7
	v_subrev_u32_e32 v9, s18, v7
	v_cmp_le_u32_e32 vcc, s18, v7
	v_cndmask_b32_e32 v7, v7, v9, vcc
	v_cndmask_b32_e32 v4, v4, v8, vcc
	v_add_u32_e32 v8, 1, v4
	v_cmp_le_u32_e32 vcc, s18, v7
	v_cndmask_b32_e32 v7, v4, v8, vcc
	v_mov_b32_e32 v8, v3
.LBB0_6:                                ;   in Loop: Header=BB0_2 Depth=1
	s_or_b64 exec, exec, s[0:1]
	v_mul_lo_u32 v4, v8, s18
	v_mul_lo_u32 v11, v7, s19
	v_mad_u64_u32 v[9:10], s[0:1], v7, s18, 0
	s_load_dwordx2 s[0:1], s[6:7], 0x0
	s_add_u32 s16, s16, 1
	v_add3_u32 v4, v10, v11, v4
	v_sub_co_u32_e32 v5, vcc, v5, v9
	v_subb_co_u32_e32 v4, vcc, v6, v4, vcc
	s_waitcnt lgkmcnt(0)
	v_mul_lo_u32 v4, s0, v4
	v_mul_lo_u32 v6, s1, v5
	v_mad_u64_u32 v[1:2], s[0:1], s0, v5, v[1:2]
	s_addc_u32 s17, s17, 0
	s_add_u32 s6, s6, 8
	v_add3_u32 v2, v6, v2, v4
	v_mov_b32_e32 v4, s10
	v_mov_b32_e32 v5, s11
	s_addc_u32 s7, s7, 0
	v_cmp_ge_u64_e32 vcc, s[16:17], v[4:5]
	s_add_u32 s14, s14, 8
	s_addc_u32 s15, s15, 0
	s_cbranch_vccnz .LBB0_9
; %bb.7:                                ;   in Loop: Header=BB0_2 Depth=1
	v_mov_b32_e32 v5, v7
	v_mov_b32_e32 v6, v8
	s_branch .LBB0_2
.LBB0_8:
	v_mov_b32_e32 v8, v6
	v_mov_b32_e32 v7, v5
.LBB0_9:
	s_lshl_b64 s[0:1], s[10:11], 3
	s_add_u32 s0, s12, s0
	s_addc_u32 s1, s13, s1
	s_load_dwordx2 s[6:7], s[0:1], 0x0
	s_load_dwordx2 s[10:11], s[4:5], 0x20
	s_waitcnt lgkmcnt(0)
	v_mad_u64_u32 v[1:2], s[0:1], s6, v7, v[1:2]
	v_mul_lo_u32 v3, s6, v8
	v_mul_lo_u32 v4, s7, v7
	s_mov_b32 s0, 0x20c49bb
	v_mul_hi_u32 v5, v0, s0
	v_cmp_gt_u64_e64 s[0:1], s[10:11], v[7:8]
	v_add3_u32 v2, v4, v2, v3
	v_lshlrev_b64 v[32:33], 3, v[1:2]
	v_mul_u32_u24_e32 v3, 0x7d, v5
	v_sub_u32_e32 v30, v0, v3
	s_and_saveexec_b64 s[4:5], s[0:1]
	s_cbranch_execz .LBB0_13
; %bb.10:
	v_mov_b32_e32 v31, 0
	v_mov_b32_e32 v0, s3
	v_add_co_u32_e32 v1, vcc, s2, v32
	v_lshlrev_b64 v[2:3], 3, v[30:31]
	v_addc_co_u32_e32 v0, vcc, v0, v33, vcc
	v_add_co_u32_e32 v2, vcc, v1, v2
	v_addc_co_u32_e32 v3, vcc, v0, v3, vcc
	s_movk_i32 s6, 0x1000
	v_add_co_u32_e32 v6, vcc, s6, v2
	v_addc_co_u32_e32 v7, vcc, 0, v3, vcc
	s_movk_i32 s6, 0x2000
	v_add_co_u32_e32 v22, vcc, s6, v2
	v_addc_co_u32_e32 v23, vcc, 0, v3, vcc
	global_load_dwordx2 v[4:5], v[2:3], off offset:3000
	global_load_dwordx2 v[8:9], v[2:3], off offset:4000
	;; [unrolled: 1-line block ×5, first 2 shown]
	global_load_dwordx2 v[16:17], v[2:3], off
	global_load_dwordx2 v[18:19], v[2:3], off offset:2000
	global_load_dwordx2 v[20:21], v[2:3], off offset:1000
	v_add_co_u32_e32 v2, vcc, 0x3000, v2
	v_addc_co_u32_e32 v3, vcc, 0, v3, vcc
	global_load_dwordx2 v[24:25], v[6:7], off offset:3904
	global_load_dwordx2 v[26:27], v[22:23], off offset:808
	global_load_dwordx2 v[28:29], v[22:23], off offset:1808
	global_load_dwordx2 v[34:35], v[22:23], off offset:2808
	global_load_dwordx2 v[36:37], v[22:23], off offset:3808
	global_load_dwordx2 v[38:39], v[2:3], off offset:712
	global_load_dwordx2 v[40:41], v[2:3], off offset:1712
	global_load_dwordx2 v[42:43], v[2:3], off offset:2712
	v_lshl_add_u32 v2, v30, 3, 0
	s_movk_i32 s6, 0x7c
	v_add_u32_e32 v3, 0x400, v2
	v_cmp_eq_u32_e32 vcc, s6, v30
	v_add_u32_e32 v6, 0xc00, v2
	v_add_u32_e32 v7, 0x1400, v2
	;; [unrolled: 1-line block ×6, first 2 shown]
	s_waitcnt vmcnt(9)
	ds_write2_b64 v3, v[18:19], v[4:5] offset0:122 offset1:247
	s_waitcnt vmcnt(8)
	ds_write2_b64 v2, v[16:17], v[20:21] offset1:125
	ds_write2_b64 v6, v[8:9], v[10:11] offset0:116 offset1:241
	ds_write2_b64 v7, v[12:13], v[14:15] offset0:110 offset1:235
	s_waitcnt vmcnt(6)
	ds_write2_b64 v22, v[24:25], v[26:27] offset0:104 offset1:229
	s_waitcnt vmcnt(4)
	ds_write2_b64 v23, v[28:29], v[34:35] offset0:98 offset1:223
	s_waitcnt vmcnt(2)
	ds_write2_b64 v44, v[36:37], v[38:39] offset0:92 offset1:217
	s_waitcnt vmcnt(0)
	ds_write2_b64 v45, v[40:41], v[42:43] offset0:86 offset1:211
	s_and_saveexec_b64 s[6:7], vcc
	s_cbranch_execz .LBB0_12
; %bb.11:
	v_add_co_u32_e32 v1, vcc, 0x3000, v1
	v_addc_co_u32_e32 v2, vcc, 0, v0, vcc
	global_load_dwordx2 v[0:1], v[1:2], off offset:3712
	v_mov_b32_e32 v30, 0x7c
	s_waitcnt vmcnt(0)
	ds_write_b64 v31, v[0:1] offset:16000
.LBB0_12:
	s_or_b64 exec, exec, s[6:7]
.LBB0_13:
	s_or_b64 exec, exec, s[4:5]
	v_lshlrev_b32_e32 v0, 3, v30
	v_add_u32_e32 v44, 0, v0
	s_waitcnt lgkmcnt(0)
	s_barrier
	v_sub_u32_e32 v4, 0, v0
	ds_read_b32 v5, v44
	ds_read_b32 v6, v4 offset:16000
	s_add_u32 s6, s8, 0x3e58
	s_addc_u32 s7, s9, 0
	v_cmp_ne_u32_e32 vcc, 0, v30
                                        ; implicit-def: $vgpr2_vgpr3
	s_waitcnt lgkmcnt(0)
	v_add_f32_e32 v0, v6, v5
	v_sub_f32_e32 v1, v5, v6
	s_and_saveexec_b64 s[4:5], vcc
	s_xor_b64 s[4:5], exec, s[4:5]
	s_cbranch_execz .LBB0_15
; %bb.14:
	v_mov_b32_e32 v31, 0
	v_lshlrev_b64 v[0:1], 3, v[30:31]
	v_mov_b32_e32 v2, s7
	v_add_co_u32_e32 v0, vcc, s6, v0
	v_addc_co_u32_e32 v1, vcc, v2, v1, vcc
	global_load_dwordx2 v[2:3], v[0:1], off
	ds_read_b32 v0, v4 offset:16004
	ds_read_b32 v1, v44 offset:4
	v_add_f32_e32 v7, v6, v5
	v_sub_f32_e32 v8, v5, v6
	s_waitcnt lgkmcnt(0)
	v_add_f32_e32 v9, v0, v1
	v_sub_f32_e32 v0, v1, v0
	s_waitcnt vmcnt(0)
	v_fma_f32 v10, v8, v3, v7
	v_fma_f32 v1, v9, v3, v0
	v_fma_f32 v5, -v8, v3, v7
	v_fma_f32 v6, v9, v3, -v0
	v_fma_f32 v0, -v2, v9, v10
	v_fmac_f32_e32 v1, v8, v2
	v_fmac_f32_e32 v5, v2, v9
	;; [unrolled: 1-line block ×3, first 2 shown]
	v_mov_b32_e32 v2, v30
	ds_write_b64 v4, v[5:6] offset:16000
	v_mov_b32_e32 v3, v31
.LBB0_15:
	s_andn2_saveexec_b64 s[4:5], s[4:5]
	s_cbranch_execz .LBB0_17
; %bb.16:
	v_mov_b32_e32 v7, 0
	ds_read_b64 v[2:3], v7 offset:8000
	s_waitcnt lgkmcnt(0)
	v_add_f32_e32 v5, v2, v2
	v_mul_f32_e32 v6, -2.0, v3
	v_mov_b32_e32 v2, 0
	v_mov_b32_e32 v3, 0
	ds_write_b64 v7, v[5:6] offset:8000
.LBB0_17:
	s_or_b64 exec, exec, s[4:5]
	v_lshlrev_b64 v[2:3], 3, v[2:3]
	v_mov_b32_e32 v5, s7
	v_add_co_u32_e32 v2, vcc, s6, v2
	v_addc_co_u32_e32 v3, vcc, v5, v3, vcc
	global_load_dwordx2 v[5:6], v[2:3], off offset:1000
	global_load_dwordx2 v[7:8], v[2:3], off offset:2000
	;; [unrolled: 1-line block ×4, first 2 shown]
	s_movk_i32 s4, 0x1000
	v_add_co_u32_e32 v2, vcc, s4, v2
	ds_write_b64 v44, v[0:1]
	v_addc_co_u32_e32 v3, vcc, 0, v3, vcc
	ds_read_b64 v[0:1], v44 offset:1000
	ds_read_b64 v[13:14], v4 offset:15000
	global_load_dwordx2 v[15:16], v[2:3], off offset:904
	v_add_u32_e32 v21, 0x3000, v44
	v_add_u32_e32 v22, 0x2000, v44
	v_cmp_gt_u32_e32 vcc, 25, v30
	s_waitcnt lgkmcnt(0)
	v_add_f32_e32 v17, v0, v13
	v_add_f32_e32 v18, v14, v1
	v_sub_f32_e32 v19, v0, v13
	v_sub_f32_e32 v0, v1, v14
	s_waitcnt vmcnt(4)
	v_fma_f32 v20, v19, v6, v17
	v_fma_f32 v1, v18, v6, v0
	v_fma_f32 v13, -v19, v6, v17
	v_fma_f32 v14, v18, v6, -v0
	v_fma_f32 v0, -v5, v18, v20
	v_fmac_f32_e32 v1, v19, v5
	v_fmac_f32_e32 v13, v5, v18
	;; [unrolled: 1-line block ×3, first 2 shown]
	ds_write_b64 v44, v[0:1] offset:1000
	ds_write_b64 v4, v[13:14] offset:15000
	ds_read_b64 v[0:1], v44 offset:2000
	ds_read_b64 v[5:6], v4 offset:14000
	global_load_dwordx2 v[13:14], v[2:3], off offset:1904
	s_waitcnt lgkmcnt(0)
	v_add_f32_e32 v17, v0, v5
	v_add_f32_e32 v18, v6, v1
	v_sub_f32_e32 v19, v0, v5
	v_sub_f32_e32 v0, v1, v6
	s_waitcnt vmcnt(4)
	v_fma_f32 v20, v19, v8, v17
	v_fma_f32 v1, v18, v8, v0
	v_fma_f32 v5, -v19, v8, v17
	v_fma_f32 v6, v18, v8, -v0
	v_fma_f32 v0, -v7, v18, v20
	v_fmac_f32_e32 v1, v19, v7
	v_fmac_f32_e32 v5, v7, v18
	;; [unrolled: 1-line block ×3, first 2 shown]
	ds_write_b64 v44, v[0:1] offset:2000
	ds_write_b64 v4, v[5:6] offset:14000
	ds_read_b64 v[0:1], v44 offset:3000
	ds_read_b64 v[5:6], v4 offset:13000
	global_load_dwordx2 v[2:3], v[2:3], off offset:2904
	v_add_u32_e32 v20, 0x1800, v44
	s_waitcnt lgkmcnt(0)
	v_add_f32_e32 v7, v0, v5
	v_add_f32_e32 v8, v6, v1
	v_sub_f32_e32 v17, v0, v5
	v_sub_f32_e32 v0, v1, v6
	s_waitcnt vmcnt(4)
	v_fma_f32 v18, v17, v10, v7
	v_fma_f32 v1, v8, v10, v0
	v_fma_f32 v5, -v17, v10, v7
	v_fma_f32 v6, v8, v10, -v0
	v_fma_f32 v0, -v9, v8, v18
	v_fmac_f32_e32 v1, v17, v9
	v_fmac_f32_e32 v5, v9, v8
	v_fmac_f32_e32 v6, v17, v9
	ds_write_b64 v44, v[0:1] offset:3000
	ds_write_b64 v4, v[5:6] offset:13000
	ds_read_b64 v[0:1], v44 offset:4000
	ds_read_b64 v[5:6], v4 offset:12000
	s_waitcnt lgkmcnt(0)
	v_add_f32_e32 v7, v0, v5
	v_add_f32_e32 v8, v6, v1
	v_sub_f32_e32 v9, v0, v5
	v_sub_f32_e32 v0, v1, v6
	s_waitcnt vmcnt(3)
	v_fma_f32 v10, v9, v12, v7
	v_fma_f32 v1, v8, v12, v0
	v_fma_f32 v5, -v9, v12, v7
	v_fma_f32 v6, v8, v12, -v0
	v_fma_f32 v0, -v11, v8, v10
	v_fmac_f32_e32 v1, v9, v11
	v_fmac_f32_e32 v5, v11, v8
	v_fmac_f32_e32 v6, v9, v11
	ds_write_b64 v44, v[0:1] offset:4000
	ds_write_b64 v4, v[5:6] offset:12000
	ds_read_b64 v[0:1], v44 offset:5000
	ds_read_b64 v[5:6], v4 offset:11000
	s_waitcnt lgkmcnt(0)
	v_add_f32_e32 v7, v0, v5
	v_add_f32_e32 v8, v6, v1
	v_sub_f32_e32 v9, v0, v5
	v_sub_f32_e32 v0, v1, v6
	s_waitcnt vmcnt(2)
	v_fma_f32 v10, v9, v16, v7
	v_fma_f32 v1, v8, v16, v0
	v_fma_f32 v5, -v9, v16, v7
	v_fma_f32 v6, v8, v16, -v0
	v_fma_f32 v0, -v15, v8, v10
	v_fmac_f32_e32 v1, v9, v15
	v_fmac_f32_e32 v5, v15, v8
	v_fmac_f32_e32 v6, v9, v15
	ds_write_b64 v44, v[0:1] offset:5000
	ds_write_b64 v4, v[5:6] offset:11000
	ds_read_b64 v[0:1], v44 offset:6000
	ds_read_b64 v[5:6], v4 offset:10000
	s_waitcnt lgkmcnt(0)
	v_add_f32_e32 v7, v0, v5
	v_add_f32_e32 v8, v6, v1
	v_sub_f32_e32 v9, v0, v5
	v_sub_f32_e32 v0, v1, v6
	s_waitcnt vmcnt(1)
	v_fma_f32 v10, v9, v14, v7
	v_fma_f32 v1, v8, v14, v0
	v_fma_f32 v5, -v9, v14, v7
	v_fma_f32 v6, v8, v14, -v0
	v_fma_f32 v0, -v13, v8, v10
	v_fmac_f32_e32 v1, v9, v13
	v_fmac_f32_e32 v5, v13, v8
	v_fmac_f32_e32 v6, v9, v13
	ds_write_b64 v44, v[0:1] offset:6000
	ds_write_b64 v4, v[5:6] offset:10000
	ds_read_b64 v[0:1], v44 offset:7000
	ds_read_b64 v[5:6], v4 offset:9000
	v_add_u32_e32 v7, 0xc00, v44
	s_waitcnt lgkmcnt(0)
	v_add_f32_e32 v8, v0, v5
	v_add_f32_e32 v9, v6, v1
	v_sub_f32_e32 v10, v0, v5
	v_sub_f32_e32 v0, v1, v6
	s_waitcnt vmcnt(0)
	v_fma_f32 v11, v10, v3, v8
	v_fma_f32 v1, v9, v3, v0
	v_fma_f32 v5, -v10, v3, v8
	v_fma_f32 v6, v9, v3, -v0
	v_fma_f32 v0, -v2, v9, v11
	v_fmac_f32_e32 v1, v10, v2
	v_fmac_f32_e32 v5, v2, v9
	;; [unrolled: 1-line block ×3, first 2 shown]
	ds_write_b64 v44, v[0:1] offset:7000
	ds_write_b64 v4, v[5:6] offset:9000
	s_waitcnt lgkmcnt(0)
	s_barrier
	s_barrier
	ds_read2_b64 v[0:3], v44 offset1:125
	ds_read2_b64 v[15:18], v7 offset0:16 offset1:141
	v_add_u32_e32 v4, 0x2400, v44
	ds_read2_b64 v[23:26], v20 offset0:32 offset1:157
	ds_read2_b64 v[34:37], v4 offset0:48 offset1:173
	v_add_u32_e32 v4, 0x400, v44
	ds_read2_b64 v[6:9], v4 offset0:122 offset1:247
	v_add_u32_e32 v4, 0x1400, v44
	ds_read2_b64 v[38:41], v21 offset0:64 offset1:189
	ds_read2_b64 v[45:48], v4 offset0:10 offset1:135
	v_add_u32_e32 v4, 0x2c00, v44
	ds_read2_b64 v[53:56], v4 offset0:42 offset1:167
	v_add_u32_e32 v4, 0x3800, v44
	ds_read2_b64 v[57:60], v4 offset0:58 offset1:183
	s_waitcnt lgkmcnt(7)
	v_add_f32_e32 v4, v0, v15
	s_waitcnt lgkmcnt(6)
	v_add_f32_e32 v4, v4, v23
	;; [unrolled: 2-line block ×4, first 2 shown]
	v_add_f32_e32 v4, v23, v34
	v_fma_f32 v4, -0.5, v4, v0
	v_sub_f32_e32 v5, v16, v39
	v_mov_b32_e32 v12, v4
	v_fmac_f32_e32 v12, 0xbf737871, v5
	v_sub_f32_e32 v11, v24, v35
	v_sub_f32_e32 v13, v15, v23
	;; [unrolled: 1-line block ×3, first 2 shown]
	v_fmac_f32_e32 v4, 0x3f737871, v5
	v_fmac_f32_e32 v12, 0xbf167918, v11
	v_add_f32_e32 v13, v13, v14
	v_fmac_f32_e32 v4, 0x3f167918, v11
	v_fmac_f32_e32 v12, 0x3e9e377a, v13
	v_fmac_f32_e32 v4, 0x3e9e377a, v13
	v_add_f32_e32 v13, v15, v38
	v_fma_f32 v0, -0.5, v13, v0
	v_mov_b32_e32 v14, v0
	v_fmac_f32_e32 v14, 0x3f737871, v11
	v_fmac_f32_e32 v0, 0xbf737871, v11
	;; [unrolled: 1-line block ×4, first 2 shown]
	v_add_f32_e32 v5, v1, v16
	v_add_f32_e32 v5, v5, v24
	;; [unrolled: 1-line block ×3, first 2 shown]
	v_sub_f32_e32 v13, v23, v15
	v_sub_f32_e32 v19, v34, v38
	v_add_f32_e32 v11, v5, v39
	v_add_f32_e32 v5, v24, v35
	;; [unrolled: 1-line block ×3, first 2 shown]
	v_fma_f32 v5, -0.5, v5, v1
	v_fmac_f32_e32 v14, 0x3e9e377a, v13
	v_fmac_f32_e32 v0, 0x3e9e377a, v13
	v_sub_f32_e32 v19, v15, v38
	v_mov_b32_e32 v13, v5
	v_fmac_f32_e32 v13, 0x3f737871, v19
	v_sub_f32_e32 v23, v23, v34
	v_sub_f32_e32 v15, v16, v24
	;; [unrolled: 1-line block ×3, first 2 shown]
	v_fmac_f32_e32 v5, 0xbf737871, v19
	v_fmac_f32_e32 v13, 0x3f167918, v23
	v_add_f32_e32 v15, v15, v27
	v_fmac_f32_e32 v5, 0xbf167918, v23
	v_fmac_f32_e32 v13, 0x3e9e377a, v15
	;; [unrolled: 1-line block ×3, first 2 shown]
	v_add_f32_e32 v15, v16, v39
	v_fma_f32 v1, -0.5, v15, v1
	v_mov_b32_e32 v15, v1
	v_fmac_f32_e32 v15, 0xbf737871, v23
	v_sub_f32_e32 v16, v24, v16
	v_sub_f32_e32 v24, v35, v39
	v_fmac_f32_e32 v1, 0x3f737871, v23
	v_fmac_f32_e32 v15, 0x3f167918, v19
	v_add_f32_e32 v16, v16, v24
	v_fmac_f32_e32 v1, 0xbf167918, v19
	v_fmac_f32_e32 v15, 0x3e9e377a, v16
	;; [unrolled: 1-line block ×3, first 2 shown]
	v_add_f32_e32 v16, v2, v17
	v_add_f32_e32 v16, v16, v25
	;; [unrolled: 1-line block ×5, first 2 shown]
	v_fma_f32 v42, -0.5, v16, v2
	v_sub_f32_e32 v16, v18, v41
	v_mov_b32_e32 v61, v42
	v_fmac_f32_e32 v61, 0xbf737871, v16
	v_sub_f32_e32 v19, v26, v37
	v_sub_f32_e32 v23, v17, v25
	;; [unrolled: 1-line block ×3, first 2 shown]
	v_fmac_f32_e32 v42, 0x3f737871, v16
	v_fmac_f32_e32 v61, 0xbf167918, v19
	v_add_f32_e32 v23, v23, v24
	v_fmac_f32_e32 v42, 0x3f167918, v19
	v_fmac_f32_e32 v61, 0x3e9e377a, v23
	v_fmac_f32_e32 v42, 0x3e9e377a, v23
	v_add_f32_e32 v23, v17, v40
	v_fma_f32 v2, -0.5, v23, v2
	v_mov_b32_e32 v24, v2
	v_fmac_f32_e32 v24, 0x3f737871, v19
	v_fmac_f32_e32 v2, 0xbf737871, v19
	;; [unrolled: 1-line block ×4, first 2 shown]
	v_add_f32_e32 v16, v3, v18
	v_add_f32_e32 v16, v16, v26
	v_sub_f32_e32 v23, v25, v17
	v_sub_f32_e32 v28, v36, v40
	v_add_f32_e32 v16, v16, v37
	v_add_f32_e32 v23, v23, v28
	;; [unrolled: 1-line block ×4, first 2 shown]
	v_fma_f32 v43, -0.5, v16, v3
	v_sub_f32_e32 v16, v17, v40
	v_mov_b32_e32 v62, v43
	v_fmac_f32_e32 v24, 0x3e9e377a, v23
	v_fmac_f32_e32 v2, 0x3e9e377a, v23
	;; [unrolled: 1-line block ×3, first 2 shown]
	v_sub_f32_e32 v17, v25, v36
	v_sub_f32_e32 v19, v18, v26
	v_sub_f32_e32 v23, v41, v37
	v_fmac_f32_e32 v43, 0xbf737871, v16
	v_fmac_f32_e32 v62, 0x3f167918, v17
	v_add_f32_e32 v19, v19, v23
	v_fmac_f32_e32 v43, 0xbf167918, v17
	ds_read2_b64 v[49:52], v22 offset0:26 offset1:151
	v_fmac_f32_e32 v62, 0x3e9e377a, v19
	v_fmac_f32_e32 v43, 0x3e9e377a, v19
	v_add_f32_e32 v19, v18, v41
	v_fmac_f32_e32 v3, -0.5, v19
	v_mov_b32_e32 v25, v3
	v_fmac_f32_e32 v25, 0xbf737871, v17
	v_fmac_f32_e32 v3, 0x3f737871, v17
	;; [unrolled: 1-line block ×4, first 2 shown]
	s_waitcnt lgkmcnt(3)
	v_add_f32_e32 v16, v6, v45
	s_waitcnt lgkmcnt(0)
	v_add_f32_e32 v16, v16, v49
	v_add_f32_e32 v16, v16, v53
	;; [unrolled: 1-line block ×4, first 2 shown]
	v_sub_f32_e32 v18, v26, v18
	v_sub_f32_e32 v19, v37, v41
	v_fma_f32 v16, -0.5, v16, v6
	v_add_f32_e32 v18, v18, v19
	v_sub_f32_e32 v17, v46, v58
	v_mov_b32_e32 v65, v16
	v_fmac_f32_e32 v25, 0x3e9e377a, v18
	v_fmac_f32_e32 v3, 0x3e9e377a, v18
	;; [unrolled: 1-line block ×3, first 2 shown]
	v_sub_f32_e32 v19, v50, v54
	v_sub_f32_e32 v18, v45, v49
	;; [unrolled: 1-line block ×3, first 2 shown]
	v_fmac_f32_e32 v16, 0x3f737871, v17
	v_fmac_f32_e32 v65, 0xbf167918, v19
	v_add_f32_e32 v18, v18, v23
	v_fmac_f32_e32 v16, 0x3f167918, v19
	v_fmac_f32_e32 v65, 0x3e9e377a, v18
	;; [unrolled: 1-line block ×3, first 2 shown]
	v_add_f32_e32 v18, v45, v57
	v_fma_f32 v6, -0.5, v18, v6
	v_mov_b32_e32 v18, v6
	v_fmac_f32_e32 v18, 0x3f737871, v19
	v_fmac_f32_e32 v6, 0xbf737871, v19
	;; [unrolled: 1-line block ×4, first 2 shown]
	v_add_f32_e32 v17, v7, v46
	v_add_f32_e32 v17, v17, v50
	;; [unrolled: 1-line block ×3, first 2 shown]
	v_sub_f32_e32 v23, v49, v45
	v_sub_f32_e32 v26, v53, v57
	v_add_f32_e32 v64, v17, v58
	v_add_f32_e32 v17, v50, v54
	;; [unrolled: 1-line block ×3, first 2 shown]
	v_fma_f32 v17, -0.5, v17, v7
	v_fmac_f32_e32 v18, 0x3e9e377a, v23
	v_fmac_f32_e32 v6, 0x3e9e377a, v23
	v_sub_f32_e32 v23, v45, v57
	v_mov_b32_e32 v66, v17
	v_fmac_f32_e32 v66, 0x3f737871, v23
	v_sub_f32_e32 v26, v49, v53
	v_sub_f32_e32 v19, v46, v50
	;; [unrolled: 1-line block ×3, first 2 shown]
	v_fmac_f32_e32 v17, 0xbf737871, v23
	v_fmac_f32_e32 v66, 0x3f167918, v26
	v_add_f32_e32 v19, v19, v29
	v_fmac_f32_e32 v17, 0xbf167918, v26
	v_fmac_f32_e32 v66, 0x3e9e377a, v19
	v_fmac_f32_e32 v17, 0x3e9e377a, v19
	v_add_f32_e32 v19, v46, v58
	v_fma_f32 v7, -0.5, v19, v7
	v_mov_b32_e32 v19, v7
	v_fmac_f32_e32 v19, 0xbf737871, v26
	v_fmac_f32_e32 v7, 0x3f737871, v26
	;; [unrolled: 1-line block ×4, first 2 shown]
	v_add_f32_e32 v23, v8, v47
	v_add_f32_e32 v23, v23, v51
	;; [unrolled: 1-line block ×5, first 2 shown]
	v_sub_f32_e32 v29, v50, v46
	v_sub_f32_e32 v31, v54, v58
	v_fma_f32 v36, -0.5, v23, v8
	v_add_f32_e32 v29, v29, v31
	v_sub_f32_e32 v23, v48, v60
	v_mov_b32_e32 v38, v36
	v_fmac_f32_e32 v19, 0x3e9e377a, v29
	v_fmac_f32_e32 v7, 0x3e9e377a, v29
	;; [unrolled: 1-line block ×3, first 2 shown]
	v_sub_f32_e32 v26, v52, v56
	v_sub_f32_e32 v29, v47, v51
	;; [unrolled: 1-line block ×3, first 2 shown]
	v_fmac_f32_e32 v36, 0x3f737871, v23
	v_fmac_f32_e32 v38, 0xbf167918, v26
	v_add_f32_e32 v29, v29, v31
	v_fmac_f32_e32 v36, 0x3f167918, v26
	v_fmac_f32_e32 v38, 0x3e9e377a, v29
	;; [unrolled: 1-line block ×3, first 2 shown]
	v_add_f32_e32 v29, v47, v59
	v_fma_f32 v8, -0.5, v29, v8
	v_mov_b32_e32 v40, v8
	v_fmac_f32_e32 v40, 0x3f737871, v26
	v_fmac_f32_e32 v8, 0xbf737871, v26
	;; [unrolled: 1-line block ×4, first 2 shown]
	v_add_f32_e32 v23, v9, v48
	v_add_f32_e32 v23, v23, v52
	;; [unrolled: 1-line block ×5, first 2 shown]
	v_sub_f32_e32 v29, v51, v47
	v_sub_f32_e32 v31, v55, v59
	v_fma_f32 v37, -0.5, v23, v9
	v_add_f32_e32 v29, v29, v31
	v_sub_f32_e32 v23, v47, v59
	v_mov_b32_e32 v39, v37
	v_fmac_f32_e32 v40, 0x3e9e377a, v29
	v_fmac_f32_e32 v8, 0x3e9e377a, v29
	;; [unrolled: 1-line block ×3, first 2 shown]
	v_sub_f32_e32 v26, v51, v55
	v_sub_f32_e32 v29, v48, v52
	;; [unrolled: 1-line block ×3, first 2 shown]
	v_fmac_f32_e32 v37, 0xbf737871, v23
	v_fmac_f32_e32 v39, 0x3f167918, v26
	v_add_f32_e32 v29, v29, v31
	v_fmac_f32_e32 v37, 0xbf167918, v26
	v_fmac_f32_e32 v39, 0x3e9e377a, v29
	;; [unrolled: 1-line block ×3, first 2 shown]
	v_add_f32_e32 v29, v48, v60
	v_fmac_f32_e32 v9, -0.5, v29
	v_mov_b32_e32 v41, v9
	v_fmac_f32_e32 v41, 0xbf737871, v26
	v_fmac_f32_e32 v9, 0x3f737871, v26
	;; [unrolled: 1-line block ×4, first 2 shown]
	v_lshlrev_b32_e32 v23, 5, v30
	v_add_u32_e32 v23, v44, v23
	s_barrier
	ds_write2_b64 v23, v[10:11], v[12:13] offset1:1
	ds_write2_b64 v23, v[14:15], v[0:1] offset0:2 offset1:3
	ds_write_b64 v23, v[4:5] offset:32
	v_add_u32_e32 v0, 0x1388, v23
	v_sub_f32_e32 v29, v52, v48
	v_sub_f32_e32 v31, v56, v60
	ds_write2_b64 v0, v[27:28], v[61:62] offset1:1
	v_add_u32_e32 v0, 0x1398, v23
	v_add_f32_e32 v29, v29, v31
	ds_write2_b64 v0, v[24:25], v[2:3] offset1:1
	ds_write_b64 v23, v[42:43] offset:5032
	v_add_u32_e32 v0, 0x2710, v23
	v_fmac_f32_e32 v41, 0x3e9e377a, v29
	v_fmac_f32_e32 v9, 0x3e9e377a, v29
	ds_write2_b64 v0, v[63:64], v[65:66] offset1:1
	v_add_u32_e32 v0, 0x2720, v23
	ds_write2_b64 v0, v[18:19], v[6:7] offset1:1
	ds_write_b64 v23, v[16:17] offset:10032
	s_and_saveexec_b64 s[4:5], vcc
	s_cbranch_execz .LBB0_19
; %bb.18:
	v_add_u32_e32 v0, 0x3a98, v23
	ds_write2_b64 v0, v[34:35], v[38:39] offset1:1
	v_add_u32_e32 v0, 0x3aa8, v23
	ds_write2_b64 v0, v[40:41], v[8:9] offset1:1
	ds_write_b64 v23, v[36:37] offset:15032
.LBB0_19:
	s_or_b64 exec, exec, s[4:5]
	v_add_u32_e32 v0, 0x600, v44
	s_waitcnt lgkmcnt(0)
	s_barrier
	ds_read2_b64 v[4:7], v44 offset1:125
	ds_read2_b64 v[0:3], v0 offset0:58 offset1:208
	ds_read2_b64 v[10:13], v20 offset0:32 offset1:157
	;; [unrolled: 1-line block ×4, first 2 shown]
	v_add_u32_e32 v18, 0x1000, v44
	v_add_u32_e32 v26, 0x2800, v44
	ds_read2_b64 v[18:21], v18 offset0:13 offset1:138
	ds_read2_b64 v[26:29], v26 offset0:45 offset1:170
	ds_read_b64 v[42:43], v44 offset:14800
	s_and_saveexec_b64 s[4:5], vcc
	s_cbranch_execz .LBB0_21
; %bb.20:
	ds_read_b64 v[34:35], v44 offset:3000
	ds_read_b64 v[38:39], v44 offset:6200
	;; [unrolled: 1-line block ×5, first 2 shown]
.LBB0_21:
	s_or_b64 exec, exec, s[4:5]
	v_add_u32_e32 v31, 0x177, v30
	s_mov_b32 s4, 0xcccd
	v_mul_u32_u24_sdwa v45, v31, s4 dst_sel:DWORD dst_unused:UNUSED_PAD src0_sel:WORD_0 src1_sel:DWORD
	v_lshrrev_b32_e32 v47, 18, v45
	v_mul_lo_u16_e32 v45, 5, v47
	v_sub_u16_e32 v48, v31, v45
	v_lshlrev_b32_e32 v45, 5, v48
	global_load_dwordx4 v[55:58], v45, s[8:9]
	global_load_dwordx4 v[59:62], v45, s[8:9] offset:16
	v_add_u32_e32 v45, 0xfa, v30
	s_movk_i32 s5, 0xcd
	v_add_u16_e32 v46, 0x7d, v30
	v_mul_u32_u24_sdwa v49, v45, s4 dst_sel:DWORD dst_unused:UNUSED_PAD src0_sel:WORD_0 src1_sel:DWORD
	v_mul_lo_u16_sdwa v50, v46, s5 dst_sel:DWORD dst_unused:UNUSED_PAD src0_sel:BYTE_0 src1_sel:DWORD
	v_lshrrev_b32_e32 v49, 18, v49
	v_lshrrev_b16_e32 v51, 10, v50
	v_mul_lo_u16_e32 v50, 5, v49
	v_mul_lo_u16_sdwa v52, v30, s5 dst_sel:DWORD dst_unused:UNUSED_PAD src0_sel:BYTE_0 src1_sel:DWORD
	v_sub_u16_e32 v50, v45, v50
	v_lshlrev_b32_e32 v75, 5, v50
	v_lshrrev_b16_e32 v53, 10, v52
	v_mul_lo_u16_e32 v52, 5, v51
	v_mov_b32_e32 v71, 5
	global_load_dwordx4 v[63:66], v75, s[8:9] offset:16
	v_mul_lo_u16_e32 v54, 5, v53
	v_sub_u16_e32 v52, v46, v52
	v_lshlrev_b32_sdwa v76, v71, v52 dst_sel:DWORD dst_unused:UNUSED_PAD src0_sel:DWORD src1_sel:BYTE_0
	v_sub_u16_e32 v54, v30, v54
	global_load_dwordx4 v[67:70], v76, s[8:9] offset:16
	v_lshlrev_b32_sdwa v77, v71, v54 dst_sel:DWORD dst_unused:UNUSED_PAD src0_sel:DWORD src1_sel:BYTE_0
	global_load_dwordx4 v[71:74], v77, s[8:9] offset:16
	v_mul_u32_u24_e32 v53, 0xc8, v53
	s_waitcnt vmcnt(4) lgkmcnt(3)
	v_mul_f32_e32 v78, v39, v56
	v_mul_f32_e32 v56, v38, v56
	v_fmac_f32_e32 v78, v38, v55
	s_waitcnt lgkmcnt(2)
	v_mul_f32_e32 v80, v41, v58
	v_mul_f32_e32 v38, v40, v58
	v_fma_f32 v79, v39, v55, -v56
	v_fmac_f32_e32 v80, v40, v57
	v_fma_f32 v81, v41, v57, -v38
	global_load_dwordx4 v[38:41], v75, s[8:9]
	s_waitcnt vmcnt(4) lgkmcnt(1)
	v_mul_f32_e32 v75, v9, v60
	v_mul_f32_e32 v55, v8, v60
	v_fmac_f32_e32 v75, v8, v59
	v_fma_f32 v82, v9, v59, -v55
	global_load_dwordx4 v[55:58], v76, s[8:9]
	s_waitcnt lgkmcnt(0)
	v_mul_f32_e32 v76, v37, v62
	v_mul_f32_e32 v8, v36, v62
	v_fmac_f32_e32 v76, v36, v61
	v_fma_f32 v83, v37, v61, -v8
	global_load_dwordx4 v[59:62], v77, s[8:9]
	s_waitcnt vmcnt(5)
	v_mul_f32_e32 v36, v43, v66
	v_mul_f32_e32 v8, v42, v66
	;; [unrolled: 1-line block ×3, first 2 shown]
	v_fmac_f32_e32 v36, v42, v65
	v_fma_f32 v65, v43, v65, -v8
	v_mul_f32_e32 v8, v28, v64
	v_fmac_f32_e32 v37, v28, v63
	v_fma_f32 v28, v29, v63, -v8
	s_waitcnt vmcnt(4)
	v_mul_f32_e32 v8, v68, v26
	v_mul_f32_e32 v64, v68, v27
	;; [unrolled: 1-line block ×4, first 2 shown]
	s_waitcnt vmcnt(3)
	v_mul_f32_e32 v63, v74, v23
	v_fma_f32 v66, v67, v27, -v8
	v_mul_f32_e32 v8, v74, v22
	v_fmac_f32_e32 v64, v67, v26
	v_fmac_f32_e32 v29, v24, v69
	v_fma_f32 v24, v25, v69, -v9
	v_fmac_f32_e32 v63, v73, v22
	v_fma_f32 v22, v73, v23, -v8
	v_mul_f32_e32 v27, v72, v17
	v_fmac_f32_e32 v27, v71, v16
	v_mul_f32_e32 v26, v72, v16
	v_fma_f32 v16, v71, v17, -v26
	s_waitcnt vmcnt(0)
	s_barrier
	v_mul_f32_e32 v67, v15, v41
	v_mul_f32_e32 v9, v14, v41
	v_fmac_f32_e32 v67, v14, v40
	v_fma_f32 v40, v15, v40, -v9
	v_mul_f32_e32 v41, v21, v39
	v_mul_f32_e32 v8, v56, v18
	;; [unrolled: 1-line block ×3, first 2 shown]
	v_fma_f32 v15, v55, v19, -v8
	v_fmac_f32_e32 v23, v57, v12
	v_mul_f32_e32 v8, v58, v12
	v_mul_f32_e32 v9, v62, v11
	;; [unrolled: 1-line block ×5, first 2 shown]
	v_fmac_f32_e32 v9, v61, v10
	v_fmac_f32_e32 v12, v59, v2
	v_mul_f32_e32 v2, v60, v2
	v_fmac_f32_e32 v39, v55, v18
	v_fma_f32 v18, v57, v13, -v8
	v_fma_f32 v13, v59, v3, -v2
	v_add_f32_e32 v2, v9, v27
	v_mul_f32_e32 v8, v62, v10
	v_fma_f32 v2, -0.5, v2, v4
	v_fma_f32 v11, v61, v11, -v8
	v_sub_f32_e32 v3, v13, v22
	v_mov_b32_e32 v26, v2
	v_sub_f32_e32 v8, v12, v9
	v_sub_f32_e32 v10, v63, v27
	v_fmac_f32_e32 v26, 0xbf737871, v3
	v_sub_f32_e32 v14, v11, v16
	v_fmac_f32_e32 v2, 0x3f737871, v3
	v_add_f32_e32 v8, v8, v10
	v_fmac_f32_e32 v26, 0xbf167918, v14
	v_fmac_f32_e32 v2, 0x3f167918, v14
	;; [unrolled: 1-line block ×4, first 2 shown]
	v_sub_f32_e32 v8, v9, v12
	v_sub_f32_e32 v10, v27, v63
	v_add_f32_e32 v17, v8, v10
	v_add_f32_e32 v8, v12, v63
	v_fma_f32 v8, -0.5, v8, v4
	v_mov_b32_e32 v10, v8
	v_fmac_f32_e32 v10, 0x3f737871, v14
	v_fmac_f32_e32 v8, 0xbf737871, v14
	v_fmac_f32_e32 v10, 0xbf167918, v3
	v_fmac_f32_e32 v8, 0x3f167918, v3
	v_add_f32_e32 v3, v4, v12
	v_add_f32_e32 v3, v3, v9
	;; [unrolled: 1-line block ×8, first 2 shown]
	v_fma_f32 v3, -0.5, v3, v5
	v_add_f32_e32 v43, v4, v22
	v_sub_f32_e32 v4, v12, v63
	v_sub_f32_e32 v12, v9, v27
	v_mov_b32_e32 v27, v3
	v_sub_f32_e32 v9, v13, v11
	v_sub_f32_e32 v14, v22, v16
	v_fmac_f32_e32 v27, 0x3f737871, v4
	v_fmac_f32_e32 v3, 0xbf737871, v4
	v_add_f32_e32 v9, v9, v14
	v_fmac_f32_e32 v27, 0x3f167918, v12
	v_fmac_f32_e32 v3, 0xbf167918, v12
	;; [unrolled: 1-line block ×4, first 2 shown]
	v_add_f32_e32 v9, v13, v22
	v_fma_f32 v9, -0.5, v9, v5
	v_sub_f32_e32 v5, v11, v13
	v_sub_f32_e32 v11, v16, v22
	v_add_f32_e32 v5, v5, v11
	v_mov_b32_e32 v11, v9
	v_fmac_f32_e32 v11, 0xbf737871, v12
	v_fmac_f32_e32 v9, 0x3f737871, v12
	;; [unrolled: 1-line block ×4, first 2 shown]
	v_add_f32_e32 v4, v23, v64
	v_fmac_f32_e32 v11, 0x3e9e377a, v5
	v_fmac_f32_e32 v9, 0x3e9e377a, v5
	v_sub_f32_e32 v5, v39, v23
	v_sub_f32_e32 v12, v29, v64
	v_fma_f32 v4, -0.5, v4, v6
	v_add_f32_e32 v5, v5, v12
	v_sub_f32_e32 v13, v15, v24
	v_mov_b32_e32 v12, v4
	v_fmac_f32_e32 v12, 0xbf737871, v13
	v_sub_f32_e32 v16, v18, v66
	v_fmac_f32_e32 v4, 0x3f737871, v13
	v_fmac_f32_e32 v12, 0xbf167918, v16
	;; [unrolled: 1-line block ×3, first 2 shown]
	v_add_f32_e32 v14, v39, v29
	v_fmac_f32_e32 v10, 0x3e9e377a, v17
	v_fmac_f32_e32 v8, 0x3e9e377a, v17
	;; [unrolled: 1-line block ×4, first 2 shown]
	v_add_f32_e32 v5, v6, v39
	v_fma_f32 v6, -0.5, v14, v6
	v_sub_f32_e32 v14, v23, v39
	v_sub_f32_e32 v17, v64, v29
	v_add_f32_e32 v17, v14, v17
	v_mov_b32_e32 v14, v6
	v_fmac_f32_e32 v14, 0x3f737871, v16
	v_fmac_f32_e32 v6, 0xbf737871, v16
	;; [unrolled: 1-line block ×4, first 2 shown]
	v_add_f32_e32 v5, v5, v23
	v_add_f32_e32 v13, v7, v15
	;; [unrolled: 1-line block ×7, first 2 shown]
	v_fmac_f32_e32 v41, v20, v38
	v_fma_f32 v38, v21, v38, -v25
	v_fmac_f32_e32 v14, 0x3e9e377a, v17
	v_fmac_f32_e32 v6, 0x3e9e377a, v17
	v_add_f32_e32 v17, v13, v24
	v_fma_f32 v5, -0.5, v5, v7
	v_sub_f32_e32 v13, v15, v18
	v_sub_f32_e32 v21, v24, v66
	;; [unrolled: 1-line block ×3, first 2 shown]
	v_add_f32_e32 v21, v13, v21
	v_mov_b32_e32 v13, v5
	v_sub_f32_e32 v20, v23, v64
	v_fmac_f32_e32 v13, 0x3f737871, v19
	v_fmac_f32_e32 v5, 0xbf737871, v19
	;; [unrolled: 1-line block ×6, first 2 shown]
	v_add_f32_e32 v21, v15, v24
	v_fmac_f32_e32 v7, -0.5, v21
	v_sub_f32_e32 v15, v18, v15
	v_sub_f32_e32 v18, v66, v24
	v_add_f32_e32 v18, v15, v18
	v_mov_b32_e32 v15, v7
	v_fmac_f32_e32 v15, 0xbf737871, v20
	v_fmac_f32_e32 v7, 0x3f737871, v20
	;; [unrolled: 1-line block ×6, first 2 shown]
	v_add_f32_e32 v18, v67, v37
	v_sub_f32_e32 v19, v41, v67
	v_sub_f32_e32 v20, v36, v37
	v_fma_f32 v18, -0.5, v18, v0
	v_add_f32_e32 v19, v19, v20
	v_sub_f32_e32 v21, v38, v65
	v_mov_b32_e32 v20, v18
	v_fmac_f32_e32 v20, 0xbf737871, v21
	v_sub_f32_e32 v23, v40, v28
	v_fmac_f32_e32 v18, 0x3f737871, v21
	v_fmac_f32_e32 v20, 0xbf167918, v23
	v_fmac_f32_e32 v18, 0x3f167918, v23
	v_add_f32_e32 v22, v41, v36
	v_fmac_f32_e32 v20, 0x3e9e377a, v19
	v_fmac_f32_e32 v18, 0x3e9e377a, v19
	v_add_f32_e32 v19, v0, v41
	v_fma_f32 v0, -0.5, v22, v0
	v_sub_f32_e32 v22, v67, v41
	v_sub_f32_e32 v24, v37, v36
	v_add_f32_e32 v24, v22, v24
	v_mov_b32_e32 v22, v0
	v_fmac_f32_e32 v22, 0x3f737871, v23
	v_fmac_f32_e32 v0, 0xbf737871, v23
	;; [unrolled: 1-line block ×4, first 2 shown]
	v_add_f32_e32 v19, v19, v67
	v_add_f32_e32 v21, v1, v38
	;; [unrolled: 1-line block ×4, first 2 shown]
	v_fmac_f32_e32 v22, 0x3e9e377a, v24
	v_fmac_f32_e32 v0, 0x3e9e377a, v24
	v_add_f32_e32 v21, v21, v28
	v_add_f32_e32 v24, v19, v36
	;; [unrolled: 1-line block ×4, first 2 shown]
	v_fma_f32 v19, -0.5, v19, v1
	v_sub_f32_e32 v21, v38, v40
	v_sub_f32_e32 v23, v65, v28
	;; [unrolled: 1-line block ×3, first 2 shown]
	v_add_f32_e32 v23, v21, v23
	v_mov_b32_e32 v21, v19
	v_sub_f32_e32 v36, v67, v37
	v_fmac_f32_e32 v21, 0x3f737871, v29
	v_fmac_f32_e32 v19, 0xbf737871, v29
	;; [unrolled: 1-line block ×6, first 2 shown]
	v_add_f32_e32 v23, v38, v65
	v_fmac_f32_e32 v1, -0.5, v23
	v_sub_f32_e32 v23, v40, v38
	v_sub_f32_e32 v28, v28, v65
	v_add_f32_e32 v28, v23, v28
	v_mov_b32_e32 v23, v1
	v_fmac_f32_e32 v23, 0xbf737871, v36
	v_fmac_f32_e32 v1, 0x3f737871, v36
	v_fmac_f32_e32 v23, 0x3f167918, v29
	v_fmac_f32_e32 v1, 0xbf167918, v29
	v_fmac_f32_e32 v23, 0x3e9e377a, v28
	v_fmac_f32_e32 v1, 0x3e9e377a, v28
	v_add_f32_e32 v28, v80, v75
	v_sub_f32_e32 v29, v78, v80
	v_sub_f32_e32 v36, v76, v75
	v_fma_f32 v38, -0.5, v28, v34
	v_add_f32_e32 v29, v29, v36
	v_sub_f32_e32 v28, v79, v83
	v_mov_b32_e32 v36, v38
	v_fmac_f32_e32 v36, 0xbf737871, v28
	v_sub_f32_e32 v37, v81, v82
	v_fmac_f32_e32 v38, 0x3f737871, v28
	v_fmac_f32_e32 v36, 0xbf167918, v37
	;; [unrolled: 1-line block ×3, first 2 shown]
	v_add_f32_e32 v39, v78, v76
	v_fmac_f32_e32 v36, 0x3e9e377a, v29
	v_fmac_f32_e32 v38, 0x3e9e377a, v29
	v_add_f32_e32 v29, v34, v78
	v_fmac_f32_e32 v34, -0.5, v39
	v_sub_f32_e32 v39, v80, v78
	v_sub_f32_e32 v40, v75, v76
	v_add_f32_e32 v39, v39, v40
	v_mov_b32_e32 v40, v34
	v_fmac_f32_e32 v40, 0x3f737871, v37
	v_fmac_f32_e32 v34, 0xbf737871, v37
	;; [unrolled: 1-line block ×4, first 2 shown]
	v_add_f32_e32 v37, v81, v82
	v_fmac_f32_e32 v40, 0x3e9e377a, v39
	v_fmac_f32_e32 v34, 0x3e9e377a, v39
	v_fma_f32 v39, -0.5, v37, v35
	v_sub_f32_e32 v37, v79, v81
	v_sub_f32_e32 v41, v83, v82
	;; [unrolled: 1-line block ×3, first 2 shown]
	v_add_f32_e32 v41, v37, v41
	v_mov_b32_e32 v37, v39
	v_sub_f32_e32 v56, v80, v75
	v_fmac_f32_e32 v37, 0x3f737871, v55
	v_fmac_f32_e32 v39, 0xbf737871, v55
	;; [unrolled: 1-line block ×6, first 2 shown]
	v_add_f32_e32 v41, v79, v83
	v_add_f32_e32 v28, v29, v80
	;; [unrolled: 1-line block ×3, first 2 shown]
	v_fmac_f32_e32 v35, -0.5, v41
	v_sub_f32_e32 v41, v81, v79
	v_sub_f32_e32 v57, v82, v83
	v_add_f32_e32 v57, v41, v57
	v_mov_b32_e32 v41, v35
	v_fmac_f32_e32 v41, 0xbf737871, v56
	v_fmac_f32_e32 v35, 0x3f737871, v56
	;; [unrolled: 1-line block ×4, first 2 shown]
	v_mov_b32_e32 v55, 3
	v_lshlrev_b32_sdwa v54, v55, v54 dst_sel:DWORD dst_unused:UNUSED_PAD src0_sel:DWORD src1_sel:BYTE_0
	v_add3_u32 v53, 0, v53, v54
	ds_write2_b64 v53, v[42:43], v[26:27] offset1:5
	ds_write2_b64 v53, v[10:11], v[8:9] offset0:10 offset1:15
	ds_write_b64 v53, v[2:3] offset:160
	v_mul_u32_u24_e32 v2, 0xc8, v51
	v_lshlrev_b32_sdwa v3, v55, v52 dst_sel:DWORD dst_unused:UNUSED_PAD src0_sel:DWORD src1_sel:BYTE_0
	v_add_f32_e32 v29, v29, v81
	v_add3_u32 v2, 0, v2, v3
	v_add_f32_e32 v28, v28, v75
	v_add_f32_e32 v29, v29, v82
	ds_write2_b64 v2, v[16:17], v[12:13] offset1:5
	ds_write2_b64 v2, v[14:15], v[6:7] offset0:10 offset1:15
	ds_write_b64 v2, v[4:5] offset:160
	v_mul_u32_u24_e32 v2, 0xc8, v49
	v_lshlrev_b32_e32 v3, 3, v50
	v_add_f32_e32 v28, v28, v76
	v_add_f32_e32 v29, v29, v83
	v_fmac_f32_e32 v41, 0x3e9e377a, v57
	v_fmac_f32_e32 v35, 0x3e9e377a, v57
	v_add3_u32 v2, 0, v2, v3
	ds_write2_b64 v2, v[24:25], v[20:21] offset1:5
	ds_write2_b64 v2, v[22:23], v[0:1] offset0:10 offset1:15
	ds_write_b64 v2, v[18:19] offset:160
	s_and_saveexec_b64 s[4:5], vcc
	s_cbranch_execz .LBB0_23
; %bb.22:
	v_mul_lo_u16_e32 v0, 25, v47
	v_lshlrev_b32_e32 v1, 3, v48
	v_lshlrev_b32_e32 v0, 3, v0
	v_add3_u32 v0, 0, v1, v0
	ds_write2_b64 v0, v[28:29], v[36:37] offset1:5
	ds_write2_b64 v0, v[40:41], v[34:35] offset0:10 offset1:15
	ds_write_b64 v0, v[38:39] offset:160
.LBB0_23:
	s_or_b64 exec, exec, s[4:5]
	v_add_u32_e32 v8, 0x1800, v44
	v_add_u32_e32 v12, 0x3000, v44
	s_waitcnt lgkmcnt(0)
	s_barrier
	v_add_u32_e32 v0, 0x600, v44
	ds_read2_b64 v[20:23], v8 offset0:32 offset1:157
	v_add_u32_e32 v8, 0x2000, v44
	ds_read2_b64 v[24:27], v12 offset0:64 offset1:189
	v_add_u32_e32 v12, 0x1000, v44
	v_add_u32_e32 v16, 0x2800, v44
	ds_read2_b64 v[4:7], v44 offset1:125
	ds_read2_b64 v[0:3], v0 offset0:58 offset1:208
	ds_read2_b64 v[8:11], v8 offset0:26 offset1:176
	;; [unrolled: 1-line block ×4, first 2 shown]
	ds_read_b64 v[42:43], v44 offset:14800
	s_and_saveexec_b64 s[4:5], vcc
	s_cbranch_execz .LBB0_25
; %bb.24:
	ds_read_b64 v[28:29], v44 offset:3000
	ds_read_b64 v[36:37], v44 offset:6200
	;; [unrolled: 1-line block ×5, first 2 shown]
.LBB0_25:
	s_or_b64 exec, exec, s[4:5]
	v_mov_b32_e32 v55, 41
	v_mul_lo_u16_sdwa v47, v30, v55 dst_sel:DWORD dst_unused:UNUSED_PAD src0_sel:BYTE_0 src1_sel:DWORD
	v_mul_lo_u16_sdwa v55, v46, v55 dst_sel:DWORD dst_unused:UNUSED_PAD src0_sel:BYTE_0 src1_sel:DWORD
	v_lshrrev_b16_e32 v71, 10, v47
	v_lshrrev_b16_e32 v73, 10, v55
	v_mul_lo_u16_e32 v47, 25, v71
	v_mul_lo_u16_e32 v55, 25, v73
	v_sub_u16_e32 v72, v30, v47
	v_mov_b32_e32 v56, 5
	v_sub_u16_e32 v46, v46, v55
	v_lshlrev_b32_sdwa v57, v56, v72 dst_sel:DWORD dst_unused:UNUSED_PAD src0_sel:DWORD src1_sel:BYTE_0
	v_lshlrev_b32_sdwa v63, v56, v46 dst_sel:DWORD dst_unused:UNUSED_PAD src0_sel:DWORD src1_sel:BYTE_0
	s_movk_i32 s6, 0x47af
	global_load_dwordx4 v[47:50], v57, s[8:9] offset:160
	global_load_dwordx4 v[51:54], v57, s[8:9] offset:176
	s_nop 0
	global_load_dwordx4 v[55:58], v63, s[8:9] offset:160
	global_load_dwordx4 v[59:62], v63, s[8:9] offset:176
	v_mul_u32_u24_sdwa v63, v45, s6 dst_sel:DWORD dst_unused:UNUSED_PAD src0_sel:WORD_0 src1_sel:DWORD
	v_sub_u16_sdwa v64, v45, v63 dst_sel:DWORD dst_unused:UNUSED_PAD src0_sel:DWORD src1_sel:WORD_1
	v_lshrrev_b16_e32 v64, 1, v64
	v_add_u16_sdwa v63, v64, v63 dst_sel:DWORD dst_unused:UNUSED_PAD src0_sel:DWORD src1_sel:WORD_1
	v_lshrrev_b16_e32 v74, 4, v63
	v_mul_lo_u16_e32 v63, 25, v74
	v_sub_u16_e32 v45, v45, v63
	v_lshlrev_b32_e32 v75, 5, v45
	global_load_dwordx4 v[63:66], v75, s[8:9] offset:160
	global_load_dwordx4 v[67:70], v75, s[8:9] offset:176
	s_waitcnt vmcnt(0) lgkmcnt(0)
	s_barrier
	v_mul_f32_e32 v75, v48, v3
	v_mul_f32_e32 v76, v50, v21
	;; [unrolled: 1-line block ×4, first 2 shown]
	v_fmac_f32_e32 v75, v47, v2
	v_fmac_f32_e32 v76, v49, v20
	;; [unrolled: 1-line block ×3, first 2 shown]
	v_mul_f32_e32 v78, v54, v25
	v_mul_f32_e32 v54, v54, v24
	v_fma_f32 v47, v47, v3, -v48
	v_add_f32_e32 v2, v4, v75
	v_add_f32_e32 v3, v76, v77
	v_mul_f32_e32 v50, v50, v20
	v_mul_f32_e32 v52, v52, v10
	;; [unrolled: 1-line block ×3, first 2 shown]
	v_fmac_f32_e32 v78, v53, v24
	v_fma_f32 v24, v53, v25, -v54
	v_mul_f32_e32 v48, v9, v66
	v_add_f32_e32 v54, v2, v76
	v_fma_f32 v2, -0.5, v3, v4
	v_mul_f32_e32 v79, v56, v13
	v_mul_f32_e32 v56, v56, v12
	;; [unrolled: 1-line block ×3, first 2 shown]
	v_fma_f32 v20, v49, v21, -v50
	v_fma_f32 v21, v51, v11, -v52
	v_fmac_f32_e32 v81, v59, v16
	v_sub_f32_e32 v11, v47, v24
	v_add_f32_e32 v16, v75, v78
	v_mul_f32_e32 v49, v8, v66
	v_fmac_f32_e32 v48, v8, v65
	v_mov_b32_e32 v8, v2
	v_fmac_f32_e32 v79, v55, v12
	v_fma_f32 v25, v55, v13, -v56
	v_sub_f32_e32 v13, v20, v21
	v_sub_f32_e32 v10, v75, v76
	;; [unrolled: 1-line block ×3, first 2 shown]
	v_fmac_f32_e32 v2, 0x3f737871, v11
	v_fmac_f32_e32 v8, 0xbf737871, v11
	v_fma_f32 v4, -0.5, v16, v4
	v_add_f32_e32 v3, v10, v12
	v_fma_f32 v49, v9, v65, -v49
	v_add_f32_e32 v9, v54, v77
	v_fmac_f32_e32 v2, 0x3f167918, v13
	v_fmac_f32_e32 v8, 0xbf167918, v13
	v_mov_b32_e32 v12, v4
	v_add_f32_e32 v10, v9, v78
	v_fmac_f32_e32 v2, 0x3e9e377a, v3
	v_fmac_f32_e32 v8, 0x3e9e377a, v3
	;; [unrolled: 1-line block ×3, first 2 shown]
	v_sub_f32_e32 v3, v76, v75
	v_sub_f32_e32 v9, v77, v78
	v_fmac_f32_e32 v4, 0xbf737871, v13
	v_fmac_f32_e32 v12, 0xbf167918, v11
	v_add_f32_e32 v3, v3, v9
	v_fmac_f32_e32 v4, 0x3f167918, v11
	v_fmac_f32_e32 v12, 0x3e9e377a, v3
	;; [unrolled: 1-line block ×3, first 2 shown]
	v_add_f32_e32 v3, v5, v47
	v_add_f32_e32 v3, v3, v20
	v_add_f32_e32 v3, v3, v21
	v_mul_f32_e32 v82, v62, v27
	v_mul_f32_e32 v62, v62, v26
	v_add_f32_e32 v11, v3, v24
	v_add_f32_e32 v3, v20, v21
	v_mul_f32_e32 v80, v58, v23
	v_mul_f32_e32 v58, v58, v22
	v_fmac_f32_e32 v82, v61, v26
	v_fma_f32 v26, v61, v27, -v62
	v_mul_f32_e32 v27, v15, v64
	v_fma_f32 v3, -0.5, v3, v5
	v_fmac_f32_e32 v80, v57, v22
	v_fma_f32 v22, v57, v23, -v58
	v_fma_f32 v23, v59, v17, -v60
	v_mul_f32_e32 v17, v14, v64
	v_fmac_f32_e32 v27, v14, v63
	v_sub_f32_e32 v14, v75, v78
	v_mov_b32_e32 v9, v3
	v_fma_f32 v55, v15, v63, -v17
	v_fmac_f32_e32 v9, 0x3f737871, v14
	v_sub_f32_e32 v15, v76, v77
	v_sub_f32_e32 v13, v47, v20
	;; [unrolled: 1-line block ×3, first 2 shown]
	v_fmac_f32_e32 v3, 0xbf737871, v14
	v_fmac_f32_e32 v9, 0x3f167918, v15
	v_add_f32_e32 v13, v13, v16
	v_fmac_f32_e32 v3, 0xbf167918, v15
	v_fmac_f32_e32 v9, 0x3e9e377a, v13
	;; [unrolled: 1-line block ×3, first 2 shown]
	v_add_f32_e32 v13, v47, v24
	v_fma_f32 v5, -0.5, v13, v5
	v_mov_b32_e32 v13, v5
	v_fmac_f32_e32 v13, 0xbf737871, v15
	v_sub_f32_e32 v16, v20, v47
	v_sub_f32_e32 v17, v21, v24
	v_fmac_f32_e32 v5, 0x3f737871, v15
	v_fmac_f32_e32 v13, 0x3f167918, v14
	v_add_f32_e32 v16, v16, v17
	v_fmac_f32_e32 v5, 0xbf167918, v14
	v_add_f32_e32 v15, v80, v81
	v_mul_f32_e32 v50, v19, v68
	v_fmac_f32_e32 v13, 0x3e9e377a, v16
	v_fmac_f32_e32 v5, 0x3e9e377a, v16
	v_fma_f32 v16, -0.5, v15, v6
	v_mul_f32_e32 v51, v18, v68
	v_fmac_f32_e32 v50, v18, v67
	v_sub_f32_e32 v15, v25, v26
	v_mov_b32_e32 v18, v16
	v_fma_f32 v51, v19, v67, -v51
	v_fmac_f32_e32 v18, 0xbf737871, v15
	v_sub_f32_e32 v17, v22, v23
	v_sub_f32_e32 v19, v79, v80
	;; [unrolled: 1-line block ×3, first 2 shown]
	v_fmac_f32_e32 v16, 0x3f737871, v15
	v_fmac_f32_e32 v18, 0xbf167918, v17
	v_add_f32_e32 v19, v19, v20
	v_fmac_f32_e32 v16, 0x3f167918, v17
	v_fmac_f32_e32 v18, 0x3e9e377a, v19
	;; [unrolled: 1-line block ×3, first 2 shown]
	v_add_f32_e32 v19, v79, v82
	v_add_f32_e32 v14, v6, v79
	v_fma_f32 v6, -0.5, v19, v6
	v_mov_b32_e32 v20, v6
	v_fmac_f32_e32 v20, 0x3f737871, v17
	v_sub_f32_e32 v19, v80, v79
	v_sub_f32_e32 v21, v81, v82
	v_fmac_f32_e32 v6, 0xbf737871, v17
	v_add_f32_e32 v17, v22, v23
	v_fmac_f32_e32 v20, 0xbf167918, v15
	v_add_f32_e32 v19, v19, v21
	v_fmac_f32_e32 v6, 0x3f167918, v15
	v_fma_f32 v17, -0.5, v17, v7
	v_mul_f32_e32 v52, v43, v70
	v_mul_f32_e32 v53, v42, v70
	v_fmac_f32_e32 v20, 0x3e9e377a, v19
	v_fmac_f32_e32 v6, 0x3e9e377a, v19
	v_sub_f32_e32 v24, v79, v82
	v_mov_b32_e32 v19, v17
	v_fmac_f32_e32 v52, v42, v69
	v_fma_f32 v53, v43, v69, -v53
	v_fmac_f32_e32 v19, 0x3f737871, v24
	v_sub_f32_e32 v42, v80, v81
	v_sub_f32_e32 v21, v25, v22
	;; [unrolled: 1-line block ×3, first 2 shown]
	v_fmac_f32_e32 v17, 0xbf737871, v24
	v_fmac_f32_e32 v19, 0x3f167918, v42
	v_add_f32_e32 v21, v21, v43
	v_fmac_f32_e32 v17, 0xbf167918, v42
	v_add_f32_e32 v15, v7, v25
	v_fmac_f32_e32 v19, 0x3e9e377a, v21
	v_fmac_f32_e32 v17, 0x3e9e377a, v21
	v_add_f32_e32 v21, v25, v26
	v_add_f32_e32 v15, v15, v22
	v_fmac_f32_e32 v7, -0.5, v21
	v_add_f32_e32 v15, v15, v23
	v_mov_b32_e32 v21, v7
	v_sub_f32_e32 v22, v22, v25
	v_sub_f32_e32 v23, v23, v26
	v_fmac_f32_e32 v21, 0xbf737871, v42
	v_add_f32_e32 v22, v22, v23
	v_fmac_f32_e32 v7, 0x3f737871, v42
	v_add_f32_e32 v23, v48, v50
	v_fmac_f32_e32 v21, 0x3f167918, v24
	v_fmac_f32_e32 v7, 0xbf167918, v24
	v_fma_f32 v24, -0.5, v23, v0
	v_add_f32_e32 v15, v15, v26
	v_sub_f32_e32 v23, v55, v53
	v_mov_b32_e32 v26, v24
	v_fmac_f32_e32 v26, 0xbf737871, v23
	v_sub_f32_e32 v25, v49, v51
	v_sub_f32_e32 v42, v27, v48
	;; [unrolled: 1-line block ×3, first 2 shown]
	v_fmac_f32_e32 v24, 0x3f737871, v23
	v_fmac_f32_e32 v26, 0xbf167918, v25
	v_add_f32_e32 v42, v42, v43
	v_fmac_f32_e32 v24, 0x3f167918, v25
	v_fmac_f32_e32 v26, 0x3e9e377a, v42
	;; [unrolled: 1-line block ×3, first 2 shown]
	v_add_f32_e32 v42, v27, v52
	v_fmac_f32_e32 v21, 0x3e9e377a, v22
	v_fmac_f32_e32 v7, 0x3e9e377a, v22
	v_add_f32_e32 v22, v0, v27
	v_fma_f32 v0, -0.5, v42, v0
	v_mov_b32_e32 v42, v0
	v_fmac_f32_e32 v42, 0x3f737871, v25
	v_fmac_f32_e32 v0, 0xbf737871, v25
	v_add_f32_e32 v25, v49, v51
	v_sub_f32_e32 v43, v48, v27
	v_sub_f32_e32 v47, v50, v52
	v_fma_f32 v25, -0.5, v25, v1
	v_add_f32_e32 v22, v22, v48
	v_fmac_f32_e32 v42, 0xbf167918, v23
	v_add_f32_e32 v43, v43, v47
	v_fmac_f32_e32 v0, 0x3f167918, v23
	v_sub_f32_e32 v47, v27, v52
	v_mov_b32_e32 v27, v25
	v_add_f32_e32 v22, v22, v50
	v_fmac_f32_e32 v42, 0x3e9e377a, v43
	v_fmac_f32_e32 v0, 0x3e9e377a, v43
	v_fmac_f32_e32 v27, 0x3f737871, v47
	v_sub_f32_e32 v48, v48, v50
	v_sub_f32_e32 v43, v55, v49
	;; [unrolled: 1-line block ×3, first 2 shown]
	v_fmac_f32_e32 v25, 0xbf737871, v47
	v_fmac_f32_e32 v27, 0x3f167918, v48
	v_add_f32_e32 v43, v43, v50
	v_fmac_f32_e32 v25, 0xbf167918, v48
	v_fmac_f32_e32 v27, 0x3e9e377a, v43
	;; [unrolled: 1-line block ×3, first 2 shown]
	v_add_f32_e32 v43, v55, v53
	v_add_f32_e32 v23, v1, v55
	v_fmac_f32_e32 v1, -0.5, v43
	v_mov_b32_e32 v43, v1
	v_add_f32_e32 v23, v23, v49
	v_fmac_f32_e32 v43, 0xbf737871, v48
	v_sub_f32_e32 v49, v49, v55
	v_sub_f32_e32 v50, v51, v53
	v_fmac_f32_e32 v1, 0x3f737871, v48
	v_fmac_f32_e32 v43, 0x3f167918, v47
	v_add_f32_e32 v49, v49, v50
	v_fmac_f32_e32 v1, 0xbf167918, v47
	v_mov_b32_e32 v48, 3
	v_fmac_f32_e32 v43, 0x3e9e377a, v49
	v_fmac_f32_e32 v1, 0x3e9e377a, v49
	v_mul_u32_u24_e32 v47, 0x3e8, v71
	v_lshlrev_b32_sdwa v49, v48, v72 dst_sel:DWORD dst_unused:UNUSED_PAD src0_sel:DWORD src1_sel:BYTE_0
	v_add_f32_e32 v14, v14, v80
	v_add3_u32 v47, 0, v47, v49
	v_add_f32_e32 v14, v14, v81
	ds_write2_b64 v47, v[10:11], v[8:9] offset1:25
	ds_write2_b64 v47, v[12:13], v[4:5] offset0:50 offset1:75
	ds_write_b64 v47, v[2:3] offset:800
	v_mul_u32_u24_e32 v2, 0x3e8, v73
	v_lshlrev_b32_sdwa v3, v48, v46 dst_sel:DWORD dst_unused:UNUSED_PAD src0_sel:DWORD src1_sel:BYTE_0
	v_add_f32_e32 v14, v14, v82
	v_add3_u32 v2, 0, v2, v3
	v_add_f32_e32 v23, v23, v51
	ds_write2_b64 v2, v[14:15], v[18:19] offset1:25
	ds_write2_b64 v2, v[20:21], v[6:7] offset0:50 offset1:75
	ds_write_b64 v2, v[16:17] offset:800
	v_mul_u32_u24_e32 v2, 0x3e8, v74
	v_lshlrev_b32_e32 v3, 3, v45
	v_add_f32_e32 v22, v22, v52
	v_add_f32_e32 v23, v23, v53
	v_add3_u32 v2, 0, v2, v3
	ds_write2_b64 v2, v[22:23], v[26:27] offset1:25
	ds_write2_b64 v2, v[42:43], v[0:1] offset0:50 offset1:75
	ds_write_b64 v2, v[24:25] offset:800
	s_and_saveexec_b64 s[4:5], vcc
	s_cbranch_execz .LBB0_27
; %bb.26:
	v_mul_u32_u24_sdwa v0, v31, s6 dst_sel:DWORD dst_unused:UNUSED_PAD src0_sel:WORD_0 src1_sel:DWORD
	v_sub_u16_sdwa v1, v31, v0 dst_sel:DWORD dst_unused:UNUSED_PAD src0_sel:DWORD src1_sel:WORD_1
	v_lshrrev_b16_e32 v1, 1, v1
	v_add_u16_sdwa v0, v1, v0 dst_sel:DWORD dst_unused:UNUSED_PAD src0_sel:DWORD src1_sel:WORD_1
	v_lshrrev_b16_e32 v0, 4, v0
	v_mul_lo_u16_e32 v0, 25, v0
	v_sub_u16_e32 v8, v31, v0
	v_lshlrev_b32_e32 v9, 5, v8
	global_load_dwordx4 v[0:3], v9, s[8:9] offset:160
	global_load_dwordx4 v[4:7], v9, s[8:9] offset:176
	v_lshl_add_u32 v10, v8, 3, 0
	v_add_u32_e32 v11, 0x3800, v10
	s_waitcnt vmcnt(1)
	v_mul_f32_e32 v8, v40, v3
	v_mul_f32_e32 v9, v36, v1
	s_waitcnt vmcnt(0)
	v_mul_f32_e32 v12, v34, v5
	v_mul_f32_e32 v13, v38, v7
	;; [unrolled: 1-line block ×6, first 2 shown]
	v_fma_f32 v5, v41, v2, -v8
	v_fma_f32 v3, v37, v0, -v9
	;; [unrolled: 1-line block ×4, first 2 shown]
	v_fmac_f32_e32 v14, v40, v2
	v_fmac_f32_e32 v15, v34, v4
	;; [unrolled: 1-line block ×4, first 2 shown]
	v_sub_f32_e32 v0, v5, v3
	v_sub_f32_e32 v2, v8, v9
	v_add_f32_e32 v4, v3, v9
	v_add_f32_e32 v17, v5, v8
	;; [unrolled: 1-line block ×5, first 2 shown]
	v_sub_f32_e32 v13, v1, v16
	v_sub_f32_e32 v6, v3, v5
	;; [unrolled: 1-line block ×6, first 2 shown]
	v_add_f32_e32 v27, v28, v1
	v_add_f32_e32 v31, v0, v2
	v_fma_f32 v1, -0.5, v4, v29
	v_fma_f32 v3, -0.5, v17, v29
	v_add_f32_e32 v4, v18, v5
	v_fma_f32 v0, -0.5, v22, v28
	v_fma_f32 v2, -0.5, v26, v28
	v_sub_f32_e32 v12, v14, v15
	v_sub_f32_e32 v23, v5, v8
	;; [unrolled: 1-line block ×3, first 2 shown]
	v_add_f32_e32 v34, v6, v7
	v_add_f32_e32 v14, v27, v14
	v_mov_b32_e32 v5, v1
	v_mov_b32_e32 v7, v3
	v_fmac_f32_e32 v3, 0x3f737871, v13
	v_add_f32_e32 v8, v4, v8
	v_mov_b32_e32 v4, v0
	v_mov_b32_e32 v6, v2
	v_fmac_f32_e32 v2, 0xbf737871, v21
	v_sub_f32_e32 v20, v15, v16
	v_add_f32_e32 v18, v24, v25
	v_fmac_f32_e32 v1, 0xbf737871, v12
	v_fmac_f32_e32 v0, 0x3f737871, v23
	v_add_f32_e32 v14, v14, v15
	v_fmac_f32_e32 v5, 0x3f737871, v12
	v_fmac_f32_e32 v7, 0xbf737871, v13
	;; [unrolled: 1-line block ×6, first 2 shown]
	v_add_f32_e32 v17, v19, v20
	v_fmac_f32_e32 v1, 0x3f167918, v13
	v_add_f32_e32 v9, v8, v9
	v_fmac_f32_e32 v0, 0xbf167918, v21
	;; [unrolled: 2-line block ×3, first 2 shown]
	v_fmac_f32_e32 v7, 0xbf167918, v12
	v_fmac_f32_e32 v3, 0x3e9e377a, v34
	;; [unrolled: 1-line block ×11, first 2 shown]
	ds_write2_b64 v11, v[8:9], v[2:3] offset0:83 offset1:108
	ds_write2_b64 v11, v[0:1], v[4:5] offset0:133 offset1:158
	ds_write_b64 v10, v[6:7] offset:15800
.LBB0_27:
	s_or_b64 exec, exec, s[4:5]
	v_mul_u32_u24_e32 v0, 15, v30
	v_lshlrev_b32_e32 v31, 3, v0
	s_waitcnt lgkmcnt(0)
	s_barrier
	global_load_dwordx4 v[0:3], v31, s[8:9] offset:960
	global_load_dwordx4 v[4:7], v31, s[8:9] offset:976
	;; [unrolled: 1-line block ×7, first 2 shown]
	global_load_dwordx2 v[28:29], v31, s[8:9] offset:1072
	ds_read2_b64 v[34:37], v44 offset1:125
	v_add_u32_e32 v31, 0x400, v44
	v_add_u32_e32 v42, 0xc00, v44
	;; [unrolled: 1-line block ×7, first 2 shown]
	ds_read2_b64 v[38:41], v31 offset0:122 offset1:247
	ds_read2_b64 v[45:48], v42 offset0:116 offset1:241
	;; [unrolled: 1-line block ×7, first 2 shown]
	s_waitcnt vmcnt(0) lgkmcnt(0)
	s_barrier
	v_mul_f32_e32 v73, v1, v37
	v_mul_f32_e32 v1, v1, v36
	;; [unrolled: 1-line block ×8, first 2 shown]
	v_fmac_f32_e32 v73, v0, v36
	v_fma_f32 v0, v0, v37, -v1
	v_fmac_f32_e32 v74, v2, v38
	v_fma_f32 v1, v2, v39, -v3
	v_mul_f32_e32 v2, v48, v9
	v_mul_f32_e32 v3, v47, v9
	;; [unrolled: 1-line block ×4, first 2 shown]
	v_fmac_f32_e32 v75, v4, v40
	v_fma_f32 v4, v4, v41, -v5
	v_mul_f32_e32 v5, v52, v13
	v_mul_f32_e32 v13, v51, v13
	;; [unrolled: 1-line block ×4, first 2 shown]
	v_fmac_f32_e32 v76, v6, v45
	v_fma_f32 v6, v6, v46, -v7
	v_mul_f32_e32 v7, v56, v17
	v_mul_f32_e32 v17, v55, v17
	v_fmac_f32_e32 v2, v47, v8
	v_fma_f32 v3, v48, v8, -v3
	v_mul_f32_e32 v8, v60, v21
	v_mul_f32_e32 v21, v59, v21
	v_mul_f32_e32 v38, v62, v23
	v_mul_f32_e32 v37, v58, v19
	v_mul_f32_e32 v19, v57, v19
	v_fmac_f32_e32 v9, v49, v10
	v_fma_f32 v10, v50, v10, -v11
	v_mul_f32_e32 v11, v64, v25
	v_mul_f32_e32 v25, v63, v25
	;; [unrolled: 1-line block ×3, first 2 shown]
	v_fmac_f32_e32 v5, v51, v12
	v_fma_f32 v12, v52, v12, -v13
	v_fmac_f32_e32 v36, v53, v14
	v_fma_f32 v13, v54, v14, -v15
	;; [unrolled: 2-line block ×4, first 2 shown]
	v_fmac_f32_e32 v38, v61, v22
	v_mul_f32_e32 v20, v68, v29
	v_mul_f32_e32 v23, v61, v23
	;; [unrolled: 1-line block ×3, first 2 shown]
	v_fmac_f32_e32 v37, v57, v18
	v_fma_f32 v15, v58, v18, -v19
	v_fmac_f32_e32 v11, v63, v24
	v_fma_f32 v18, v64, v24, -v25
	v_fmac_f32_e32 v39, v65, v26
	v_fmac_f32_e32 v20, v67, v28
	v_sub_f32_e32 v13, v35, v13
	v_sub_f32_e32 v25, v76, v38
	v_fma_f32 v17, v62, v22, -v23
	v_fma_f32 v19, v66, v26, -v27
	v_mul_f32_e32 v21, v67, v29
	v_sub_f32_e32 v22, v34, v36
	v_fma_f32 v26, v76, 2.0, -v25
	v_sub_f32_e32 v15, v1, v15
	v_sub_f32_e32 v29, v9, v39
	;; [unrolled: 1-line block ×7, first 2 shown]
	v_fma_f32 v23, v34, 2.0, -v22
	v_fma_f32 v24, v35, 2.0, -v13
	v_sub_f32_e32 v17, v6, v17
	v_sub_f32_e32 v27, v74, v37
	;; [unrolled: 1-line block ×3, first 2 shown]
	v_fma_f32 v9, v9, 2.0, -v29
	v_fma_f32 v34, v73, 2.0, -v7
	;; [unrolled: 1-line block ×5, first 2 shown]
	v_sub_f32_e32 v29, v15, v29
	v_mov_b32_e32 v41, v25
	v_fma_f32 v21, v68, v28, -v21
	v_fma_f32 v6, v6, 2.0, -v17
	v_fma_f32 v1, v1, 2.0, -v15
	;; [unrolled: 1-line block ×3, first 2 shown]
	v_sub_f32_e32 v14, v0, v14
	v_sub_f32_e32 v18, v3, v18
	v_add_f32_e32 v17, v22, v17
	v_add_f32_e32 v19, v27, v19
	v_sub_f32_e32 v2, v34, v2
	v_sub_f32_e32 v5, v35, v5
	v_fmac_f32_e32 v41, 0x3f3504f3, v29
	v_fma_f32 v3, v3, 2.0, -v18
	v_sub_f32_e32 v16, v4, v16
	v_sub_f32_e32 v21, v12, v21
	;; [unrolled: 1-line block ×3, first 2 shown]
	v_fma_f32 v13, v13, 2.0, -v25
	v_sub_f32_e32 v10, v1, v10
	v_fma_f32 v34, v34, 2.0, -v2
	v_add_f32_e32 v18, v7, v18
	v_sub_f32_e32 v11, v14, v11
	v_fma_f32 v35, v35, 2.0, -v5
	v_mov_b32_e32 v40, v17
	v_fmac_f32_e32 v41, 0xbf3504f3, v19
	v_fma_f32 v28, v74, 2.0, -v27
	v_fma_f32 v0, v0, 2.0, -v14
	;; [unrolled: 1-line block ×11, first 2 shown]
	v_add_f32_e32 v21, v8, v21
	v_sub_f32_e32 v20, v16, v20
	v_mov_b32_e32 v38, v13
	v_fmac_f32_e32 v40, 0x3f3504f3, v19
	v_fma_f32 v19, v25, 2.0, -v41
	v_sub_f32_e32 v25, v34, v35
	v_sub_f32_e32 v26, v23, v26
	;; [unrolled: 1-line block ×5, first 2 shown]
	v_fma_f32 v8, v8, 2.0, -v21
	v_fma_f32 v16, v16, 2.0, -v20
	v_sub_f32_e32 v36, v24, v1
	v_mov_b32_e32 v37, v22
	v_fmac_f32_e32 v38, 0xbf3504f3, v15
	v_fmac_f32_e32 v40, 0x3f3504f3, v29
	v_fma_f32 v1, v34, 2.0, -v25
	v_mov_b32_e32 v29, v7
	v_mov_b32_e32 v34, v14
	v_fma_f32 v23, v23, 2.0, -v26
	v_fma_f32 v28, v28, 2.0, -v9
	;; [unrolled: 1-line block ×4, first 2 shown]
	v_fmac_f32_e32 v37, 0xbf3504f3, v27
	v_fmac_f32_e32 v38, 0xbf3504f3, v27
	v_add_f32_e32 v27, v26, v10
	v_fmac_f32_e32 v29, 0xbf3504f3, v8
	v_fmac_f32_e32 v34, 0xbf3504f3, v16
	v_sub_f32_e32 v28, v23, v28
	v_fmac_f32_e32 v37, 0x3f3504f3, v15
	v_fma_f32 v13, v13, 2.0, -v38
	v_sub_f32_e32 v39, v6, v9
	v_fma_f32 v10, v26, 2.0, -v27
	v_sub_f32_e32 v26, v0, v4
	v_fmac_f32_e32 v29, 0x3f3504f3, v16
	v_fmac_f32_e32 v34, 0xbf3504f3, v8
	v_fma_f32 v23, v23, 2.0, -v28
	v_fma_f32 v24, v24, 2.0, -v36
	;; [unrolled: 1-line block ×7, first 2 shown]
	v_sub_f32_e32 v45, v3, v5
	v_mov_b32_e32 v46, v18
	v_mov_b32_e32 v47, v11
	;; [unrolled: 1-line block ×3, first 2 shown]
	v_add_f32_e32 v35, v2, v12
	v_fma_f32 v14, v3, 2.0, -v45
	v_fmac_f32_e32 v46, 0x3f3504f3, v21
	v_fmac_f32_e32 v47, 0x3f3504f3, v20
	v_sub_f32_e32 v0, v23, v1
	v_sub_f32_e32 v1, v24, v4
	v_mov_b32_e32 v4, v15
	v_fmac_f32_e32 v5, 0xbf6c835e, v7
	v_mov_b32_e32 v9, v22
	v_fma_f32 v17, v17, 2.0, -v40
	v_fma_f32 v12, v2, 2.0, -v35
	v_fmac_f32_e32 v46, 0x3f3504f3, v20
	v_fmac_f32_e32 v47, 0xbf3504f3, v21
	;; [unrolled: 1-line block ×4, first 2 shown]
	v_mov_b32_e32 v8, v10
	v_fmac_f32_e32 v9, 0xbf3504f3, v14
	v_fma_f32 v16, v18, 2.0, -v46
	v_fma_f32 v18, v11, 2.0, -v47
	v_fmac_f32_e32 v4, 0x3ec3ef15, v7
	v_fma_f32 v7, v13, 2.0, -v5
	v_fmac_f32_e32 v8, 0xbf3504f3, v12
	v_fmac_f32_e32 v9, 0xbf3504f3, v12
	v_mov_b32_e32 v12, v17
	v_mov_b32_e32 v13, v19
	v_fmac_f32_e32 v12, 0xbec3ef15, v16
	v_fmac_f32_e32 v13, 0xbec3ef15, v18
	v_mov_b32_e32 v21, v38
	v_fmac_f32_e32 v12, 0x3f6c835e, v18
	v_fmac_f32_e32 v13, 0xbf6c835e, v16
	v_add_f32_e32 v16, v28, v26
	v_mov_b32_e32 v20, v37
	v_fmac_f32_e32 v21, 0x3ec3ef15, v34
	v_fma_f32 v3, v24, 2.0, -v1
	v_fmac_f32_e32 v8, 0x3f3504f3, v14
	v_fma_f32 v14, v17, 2.0, -v12
	v_sub_f32_e32 v17, v36, v25
	v_fma_f32 v18, v28, 2.0, -v16
	v_fmac_f32_e32 v20, 0x3ec3ef15, v29
	v_fmac_f32_e32 v21, 0xbf6c835e, v29
	v_mov_b32_e32 v24, v27
	v_mov_b32_e32 v25, v39
	;; [unrolled: 1-line block ×4, first 2 shown]
	v_fmac_f32_e32 v24, 0x3f3504f3, v35
	v_fmac_f32_e32 v25, 0x3f3504f3, v45
	;; [unrolled: 1-line block ×4, first 2 shown]
	v_fma_f32 v2, v23, 2.0, -v0
	v_fma_f32 v6, v15, 2.0, -v4
	v_fmac_f32_e32 v20, 0x3f6c835e, v34
	v_fmac_f32_e32 v24, 0x3f3504f3, v45
	;; [unrolled: 1-line block ×5, first 2 shown]
	v_fma_f32 v10, v10, 2.0, -v8
	v_fma_f32 v11, v22, 2.0, -v9
	;; [unrolled: 1-line block ×10, first 2 shown]
	ds_write2_b64 v44, v[2:3], v[6:7] offset1:125
	ds_write2_b64 v31, v[10:11], v[14:15] offset0:122 offset1:247
	ds_write2_b64 v42, v[18:19], v[22:23] offset0:116 offset1:241
	;; [unrolled: 1-line block ×7, first 2 shown]
	s_waitcnt lgkmcnt(0)
	s_barrier
	s_and_saveexec_b64 s[4:5], s[0:1]
	s_cbranch_execz .LBB0_29
; %bb.28:
	v_lshl_add_u32 v6, v30, 3, 0
	v_mov_b32_e32 v31, 0
	ds_read2_b64 v[0:3], v6 offset1:125
	v_mov_b32_e32 v4, s3
	v_add_co_u32_e32 v7, vcc, s2, v32
	v_addc_co_u32_e32 v8, vcc, v4, v33, vcc
	v_lshlrev_b64 v[4:5], 3, v[30:31]
	v_add_co_u32_e32 v4, vcc, v7, v4
	v_addc_co_u32_e32 v5, vcc, v8, v5, vcc
	s_waitcnt lgkmcnt(0)
	global_store_dwordx2 v[4:5], v[0:1], off
	v_add_u32_e32 v0, 0x7d, v30
	v_mov_b32_e32 v1, v31
	v_lshlrev_b64 v[0:1], 3, v[0:1]
	v_add_u32_e32 v4, 0xfa, v30
	v_add_co_u32_e32 v0, vcc, v7, v0
	v_addc_co_u32_e32 v1, vcc, v8, v1, vcc
	global_store_dwordx2 v[0:1], v[2:3], off
	v_add_u32_e32 v0, 0x400, v6
	v_mov_b32_e32 v5, v31
	ds_read2_b64 v[0:3], v0 offset0:122 offset1:247
	v_lshlrev_b64 v[4:5], 3, v[4:5]
	v_add_co_u32_e32 v4, vcc, v7, v4
	v_addc_co_u32_e32 v5, vcc, v8, v5, vcc
	s_waitcnt lgkmcnt(0)
	global_store_dwordx2 v[4:5], v[0:1], off
	v_add_u32_e32 v0, 0x177, v30
	v_mov_b32_e32 v1, v31
	v_lshlrev_b64 v[0:1], 3, v[0:1]
	v_add_u32_e32 v4, 0x1f4, v30
	v_add_co_u32_e32 v0, vcc, v7, v0
	v_addc_co_u32_e32 v1, vcc, v8, v1, vcc
	global_store_dwordx2 v[0:1], v[2:3], off
	v_add_u32_e32 v0, 0xc00, v6
	v_mov_b32_e32 v5, v31
	ds_read2_b64 v[0:3], v0 offset0:116 offset1:241
	;; [unrolled: 15-line block ×7, first 2 shown]
	v_lshlrev_b64 v[4:5], 3, v[4:5]
	v_add_u32_e32 v30, 0x753, v30
	v_add_co_u32_e32 v4, vcc, v7, v4
	v_addc_co_u32_e32 v5, vcc, v8, v5, vcc
	s_waitcnt lgkmcnt(0)
	global_store_dwordx2 v[4:5], v[0:1], off
	v_lshlrev_b64 v[0:1], 3, v[30:31]
	v_add_co_u32_e32 v0, vcc, v7, v0
	v_addc_co_u32_e32 v1, vcc, v8, v1, vcc
	global_store_dwordx2 v[0:1], v[2:3], off
.LBB0_29:
	s_endpgm
	.section	.rodata,"a",@progbits
	.p2align	6, 0x0
	.amdhsa_kernel fft_rtc_back_len2000_factors_5_5_5_16_wgs_125_tpt_125_halfLds_sp_ip_CI_unitstride_sbrr_C2R_dirReg
		.amdhsa_group_segment_fixed_size 0
		.amdhsa_private_segment_fixed_size 0
		.amdhsa_kernarg_size 88
		.amdhsa_user_sgpr_count 6
		.amdhsa_user_sgpr_private_segment_buffer 1
		.amdhsa_user_sgpr_dispatch_ptr 0
		.amdhsa_user_sgpr_queue_ptr 0
		.amdhsa_user_sgpr_kernarg_segment_ptr 1
		.amdhsa_user_sgpr_dispatch_id 0
		.amdhsa_user_sgpr_flat_scratch_init 0
		.amdhsa_user_sgpr_private_segment_size 0
		.amdhsa_uses_dynamic_stack 0
		.amdhsa_system_sgpr_private_segment_wavefront_offset 0
		.amdhsa_system_sgpr_workgroup_id_x 1
		.amdhsa_system_sgpr_workgroup_id_y 0
		.amdhsa_system_sgpr_workgroup_id_z 0
		.amdhsa_system_sgpr_workgroup_info 0
		.amdhsa_system_vgpr_workitem_id 0
		.amdhsa_next_free_vgpr 84
		.amdhsa_next_free_sgpr 22
		.amdhsa_reserve_vcc 1
		.amdhsa_reserve_flat_scratch 0
		.amdhsa_float_round_mode_32 0
		.amdhsa_float_round_mode_16_64 0
		.amdhsa_float_denorm_mode_32 3
		.amdhsa_float_denorm_mode_16_64 3
		.amdhsa_dx10_clamp 1
		.amdhsa_ieee_mode 1
		.amdhsa_fp16_overflow 0
		.amdhsa_exception_fp_ieee_invalid_op 0
		.amdhsa_exception_fp_denorm_src 0
		.amdhsa_exception_fp_ieee_div_zero 0
		.amdhsa_exception_fp_ieee_overflow 0
		.amdhsa_exception_fp_ieee_underflow 0
		.amdhsa_exception_fp_ieee_inexact 0
		.amdhsa_exception_int_div_zero 0
	.end_amdhsa_kernel
	.text
.Lfunc_end0:
	.size	fft_rtc_back_len2000_factors_5_5_5_16_wgs_125_tpt_125_halfLds_sp_ip_CI_unitstride_sbrr_C2R_dirReg, .Lfunc_end0-fft_rtc_back_len2000_factors_5_5_5_16_wgs_125_tpt_125_halfLds_sp_ip_CI_unitstride_sbrr_C2R_dirReg
                                        ; -- End function
	.section	.AMDGPU.csdata,"",@progbits
; Kernel info:
; codeLenInByte = 11468
; NumSgprs: 26
; NumVgprs: 84
; ScratchSize: 0
; MemoryBound: 0
; FloatMode: 240
; IeeeMode: 1
; LDSByteSize: 0 bytes/workgroup (compile time only)
; SGPRBlocks: 3
; VGPRBlocks: 20
; NumSGPRsForWavesPerEU: 26
; NumVGPRsForWavesPerEU: 84
; Occupancy: 3
; WaveLimiterHint : 1
; COMPUTE_PGM_RSRC2:SCRATCH_EN: 0
; COMPUTE_PGM_RSRC2:USER_SGPR: 6
; COMPUTE_PGM_RSRC2:TRAP_HANDLER: 0
; COMPUTE_PGM_RSRC2:TGID_X_EN: 1
; COMPUTE_PGM_RSRC2:TGID_Y_EN: 0
; COMPUTE_PGM_RSRC2:TGID_Z_EN: 0
; COMPUTE_PGM_RSRC2:TIDIG_COMP_CNT: 0
	.type	__hip_cuid_b2a0b3324cb868de,@object ; @__hip_cuid_b2a0b3324cb868de
	.section	.bss,"aw",@nobits
	.globl	__hip_cuid_b2a0b3324cb868de
__hip_cuid_b2a0b3324cb868de:
	.byte	0                               ; 0x0
	.size	__hip_cuid_b2a0b3324cb868de, 1

	.ident	"AMD clang version 19.0.0git (https://github.com/RadeonOpenCompute/llvm-project roc-6.4.0 25133 c7fe45cf4b819c5991fe208aaa96edf142730f1d)"
	.section	".note.GNU-stack","",@progbits
	.addrsig
	.addrsig_sym __hip_cuid_b2a0b3324cb868de
	.amdgpu_metadata
---
amdhsa.kernels:
  - .args:
      - .actual_access:  read_only
        .address_space:  global
        .offset:         0
        .size:           8
        .value_kind:     global_buffer
      - .offset:         8
        .size:           8
        .value_kind:     by_value
      - .actual_access:  read_only
        .address_space:  global
        .offset:         16
        .size:           8
        .value_kind:     global_buffer
      - .actual_access:  read_only
        .address_space:  global
        .offset:         24
        .size:           8
        .value_kind:     global_buffer
      - .offset:         32
        .size:           8
        .value_kind:     by_value
      - .actual_access:  read_only
        .address_space:  global
        .offset:         40
        .size:           8
        .value_kind:     global_buffer
      - .actual_access:  read_only
        .address_space:  global
        .offset:         48
        .size:           8
        .value_kind:     global_buffer
      - .offset:         56
        .size:           4
        .value_kind:     by_value
      - .actual_access:  read_only
        .address_space:  global
        .offset:         64
        .size:           8
        .value_kind:     global_buffer
      - .actual_access:  read_only
        .address_space:  global
        .offset:         72
        .size:           8
        .value_kind:     global_buffer
      - .address_space:  global
        .offset:         80
        .size:           8
        .value_kind:     global_buffer
    .group_segment_fixed_size: 0
    .kernarg_segment_align: 8
    .kernarg_segment_size: 88
    .language:       OpenCL C
    .language_version:
      - 2
      - 0
    .max_flat_workgroup_size: 125
    .name:           fft_rtc_back_len2000_factors_5_5_5_16_wgs_125_tpt_125_halfLds_sp_ip_CI_unitstride_sbrr_C2R_dirReg
    .private_segment_fixed_size: 0
    .sgpr_count:     26
    .sgpr_spill_count: 0
    .symbol:         fft_rtc_back_len2000_factors_5_5_5_16_wgs_125_tpt_125_halfLds_sp_ip_CI_unitstride_sbrr_C2R_dirReg.kd
    .uniform_work_group_size: 1
    .uses_dynamic_stack: false
    .vgpr_count:     84
    .vgpr_spill_count: 0
    .wavefront_size: 64
amdhsa.target:   amdgcn-amd-amdhsa--gfx906
amdhsa.version:
  - 1
  - 2
...

	.end_amdgpu_metadata
